;; amdgpu-corpus repo=ROCm/rocFFT kind=compiled arch=gfx1201 opt=O3
	.text
	.amdgcn_target "amdgcn-amd-amdhsa--gfx1201"
	.amdhsa_code_object_version 6
	.protected	fft_rtc_back_len1782_factors_11_3_3_3_3_2_wgs_99_tpt_99_halfLds_sp_op_CI_CI_unitstride_sbrr_dirReg ; -- Begin function fft_rtc_back_len1782_factors_11_3_3_3_3_2_wgs_99_tpt_99_halfLds_sp_op_CI_CI_unitstride_sbrr_dirReg
	.globl	fft_rtc_back_len1782_factors_11_3_3_3_3_2_wgs_99_tpt_99_halfLds_sp_op_CI_CI_unitstride_sbrr_dirReg
	.p2align	8
	.type	fft_rtc_back_len1782_factors_11_3_3_3_3_2_wgs_99_tpt_99_halfLds_sp_op_CI_CI_unitstride_sbrr_dirReg,@function
fft_rtc_back_len1782_factors_11_3_3_3_3_2_wgs_99_tpt_99_halfLds_sp_op_CI_CI_unitstride_sbrr_dirReg: ; @fft_rtc_back_len1782_factors_11_3_3_3_3_2_wgs_99_tpt_99_halfLds_sp_op_CI_CI_unitstride_sbrr_dirReg
; %bb.0:
	s_clause 0x2
	s_load_b128 s[8:11], s[0:1], 0x0
	s_load_b128 s[4:7], s[0:1], 0x58
	;; [unrolled: 1-line block ×3, first 2 shown]
	v_mul_u32_u24_e32 v1, 0x296, v0
	v_mov_b32_e32 v3, 0
	v_mov_b32_e32 v51, 0
	;; [unrolled: 1-line block ×3, first 2 shown]
	s_delay_alu instid0(VALU_DEP_4) | instskip(NEXT) | instid1(VALU_DEP_1)
	v_lshrrev_b32_e32 v1, 16, v1
	v_dual_mov_b32 v8, v3 :: v_dual_add_nc_u32 v7, ttmp9, v1
	s_wait_kmcnt 0x0
	v_cmp_lt_u64_e64 s2, s[10:11], 2
	s_delay_alu instid0(VALU_DEP_1)
	s_and_b32 vcc_lo, exec_lo, s2
	s_cbranch_vccnz .LBB0_8
; %bb.1:
	s_load_b64 s[2:3], s[0:1], 0x10
	v_mov_b32_e32 v51, 0
	v_mov_b32_e32 v52, 0
	s_delay_alu instid0(VALU_DEP_2)
	v_mov_b32_e32 v1, v51
	s_add_nc_u64 s[16:17], s[14:15], 8
	s_add_nc_u64 s[18:19], s[12:13], 8
	s_mov_b64 s[20:21], 1
	v_mov_b32_e32 v2, v52
	s_wait_kmcnt 0x0
	s_add_nc_u64 s[22:23], s[2:3], 8
	s_mov_b32 s3, 0
.LBB0_2:                                ; =>This Inner Loop Header: Depth=1
	s_load_b64 s[24:25], s[22:23], 0x0
                                        ; implicit-def: $vgpr5_vgpr6
	s_mov_b32 s2, exec_lo
	s_wait_kmcnt 0x0
	v_or_b32_e32 v4, s25, v8
	s_delay_alu instid0(VALU_DEP_1)
	v_cmpx_ne_u64_e32 0, v[3:4]
	s_wait_alu 0xfffe
	s_xor_b32 s26, exec_lo, s2
	s_cbranch_execz .LBB0_4
; %bb.3:                                ;   in Loop: Header=BB0_2 Depth=1
	s_cvt_f32_u32 s2, s24
	s_cvt_f32_u32 s27, s25
	s_sub_nc_u64 s[30:31], 0, s[24:25]
	s_wait_alu 0xfffe
	s_delay_alu instid0(SALU_CYCLE_1) | instskip(SKIP_1) | instid1(SALU_CYCLE_2)
	s_fmamk_f32 s2, s27, 0x4f800000, s2
	s_wait_alu 0xfffe
	v_s_rcp_f32 s2, s2
	s_delay_alu instid0(TRANS32_DEP_1) | instskip(SKIP_1) | instid1(SALU_CYCLE_2)
	s_mul_f32 s2, s2, 0x5f7ffffc
	s_wait_alu 0xfffe
	s_mul_f32 s27, s2, 0x2f800000
	s_wait_alu 0xfffe
	s_delay_alu instid0(SALU_CYCLE_2) | instskip(SKIP_1) | instid1(SALU_CYCLE_2)
	s_trunc_f32 s27, s27
	s_wait_alu 0xfffe
	s_fmamk_f32 s2, s27, 0xcf800000, s2
	s_cvt_u32_f32 s29, s27
	s_wait_alu 0xfffe
	s_delay_alu instid0(SALU_CYCLE_1) | instskip(SKIP_1) | instid1(SALU_CYCLE_2)
	s_cvt_u32_f32 s28, s2
	s_wait_alu 0xfffe
	s_mul_u64 s[34:35], s[30:31], s[28:29]
	s_wait_alu 0xfffe
	s_mul_hi_u32 s37, s28, s35
	s_mul_i32 s36, s28, s35
	s_mul_hi_u32 s2, s28, s34
	s_mul_i32 s33, s29, s34
	s_wait_alu 0xfffe
	s_add_nc_u64 s[36:37], s[2:3], s[36:37]
	s_mul_hi_u32 s27, s29, s34
	s_mul_hi_u32 s38, s29, s35
	s_add_co_u32 s2, s36, s33
	s_wait_alu 0xfffe
	s_add_co_ci_u32 s2, s37, s27
	s_mul_i32 s34, s29, s35
	s_add_co_ci_u32 s35, s38, 0
	s_wait_alu 0xfffe
	s_add_nc_u64 s[34:35], s[2:3], s[34:35]
	s_wait_alu 0xfffe
	v_add_co_u32 v4, s2, s28, s34
	s_delay_alu instid0(VALU_DEP_1) | instskip(SKIP_1) | instid1(VALU_DEP_1)
	s_cmp_lg_u32 s2, 0
	s_add_co_ci_u32 s29, s29, s35
	v_readfirstlane_b32 s28, v4
	s_wait_alu 0xfffe
	s_delay_alu instid0(VALU_DEP_1)
	s_mul_u64 s[30:31], s[30:31], s[28:29]
	s_wait_alu 0xfffe
	s_mul_hi_u32 s35, s28, s31
	s_mul_i32 s34, s28, s31
	s_mul_hi_u32 s2, s28, s30
	s_mul_i32 s33, s29, s30
	s_wait_alu 0xfffe
	s_add_nc_u64 s[34:35], s[2:3], s[34:35]
	s_mul_hi_u32 s27, s29, s30
	s_mul_hi_u32 s28, s29, s31
	s_wait_alu 0xfffe
	s_add_co_u32 s2, s34, s33
	s_add_co_ci_u32 s2, s35, s27
	s_mul_i32 s30, s29, s31
	s_add_co_ci_u32 s31, s28, 0
	s_wait_alu 0xfffe
	s_add_nc_u64 s[30:31], s[2:3], s[30:31]
	s_wait_alu 0xfffe
	v_add_co_u32 v6, s2, v4, s30
	s_delay_alu instid0(VALU_DEP_1) | instskip(SKIP_1) | instid1(VALU_DEP_1)
	s_cmp_lg_u32 s2, 0
	s_add_co_ci_u32 s2, s29, s31
	v_mul_hi_u32 v13, v7, v6
	s_wait_alu 0xfffe
	v_mad_co_u64_u32 v[4:5], null, v7, s2, 0
	v_mad_co_u64_u32 v[9:10], null, v8, v6, 0
	;; [unrolled: 1-line block ×3, first 2 shown]
	s_delay_alu instid0(VALU_DEP_3) | instskip(SKIP_1) | instid1(VALU_DEP_4)
	v_add_co_u32 v4, vcc_lo, v13, v4
	s_wait_alu 0xfffd
	v_add_co_ci_u32_e32 v5, vcc_lo, 0, v5, vcc_lo
	s_delay_alu instid0(VALU_DEP_2) | instskip(SKIP_1) | instid1(VALU_DEP_2)
	v_add_co_u32 v4, vcc_lo, v4, v9
	s_wait_alu 0xfffd
	v_add_co_ci_u32_e32 v4, vcc_lo, v5, v10, vcc_lo
	s_wait_alu 0xfffd
	v_add_co_ci_u32_e32 v5, vcc_lo, 0, v12, vcc_lo
	s_delay_alu instid0(VALU_DEP_2) | instskip(SKIP_1) | instid1(VALU_DEP_2)
	v_add_co_u32 v9, vcc_lo, v4, v11
	s_wait_alu 0xfffd
	v_add_co_ci_u32_e32 v6, vcc_lo, 0, v5, vcc_lo
	s_delay_alu instid0(VALU_DEP_2) | instskip(SKIP_1) | instid1(VALU_DEP_3)
	v_mul_lo_u32 v10, s25, v9
	v_mad_co_u64_u32 v[4:5], null, s24, v9, 0
	v_mul_lo_u32 v11, s24, v6
	s_delay_alu instid0(VALU_DEP_2) | instskip(NEXT) | instid1(VALU_DEP_2)
	v_sub_co_u32 v4, vcc_lo, v7, v4
	v_add3_u32 v5, v5, v11, v10
	s_delay_alu instid0(VALU_DEP_1) | instskip(SKIP_1) | instid1(VALU_DEP_1)
	v_sub_nc_u32_e32 v10, v8, v5
	s_wait_alu 0xfffd
	v_subrev_co_ci_u32_e64 v10, s2, s25, v10, vcc_lo
	v_add_co_u32 v11, s2, v9, 2
	s_wait_alu 0xf1ff
	v_add_co_ci_u32_e64 v12, s2, 0, v6, s2
	v_sub_co_u32 v13, s2, v4, s24
	v_sub_co_ci_u32_e32 v5, vcc_lo, v8, v5, vcc_lo
	s_wait_alu 0xf1ff
	v_subrev_co_ci_u32_e64 v10, s2, 0, v10, s2
	s_delay_alu instid0(VALU_DEP_3) | instskip(NEXT) | instid1(VALU_DEP_3)
	v_cmp_le_u32_e32 vcc_lo, s24, v13
	v_cmp_eq_u32_e64 s2, s25, v5
	s_wait_alu 0xfffd
	v_cndmask_b32_e64 v13, 0, -1, vcc_lo
	v_cmp_le_u32_e32 vcc_lo, s25, v10
	s_wait_alu 0xfffd
	v_cndmask_b32_e64 v14, 0, -1, vcc_lo
	v_cmp_le_u32_e32 vcc_lo, s24, v4
	;; [unrolled: 3-line block ×3, first 2 shown]
	s_wait_alu 0xfffd
	v_cndmask_b32_e64 v15, 0, -1, vcc_lo
	v_cmp_eq_u32_e32 vcc_lo, s25, v10
	s_wait_alu 0xf1ff
	s_delay_alu instid0(VALU_DEP_2)
	v_cndmask_b32_e64 v4, v15, v4, s2
	s_wait_alu 0xfffd
	v_cndmask_b32_e32 v10, v14, v13, vcc_lo
	v_add_co_u32 v13, vcc_lo, v9, 1
	s_wait_alu 0xfffd
	v_add_co_ci_u32_e32 v14, vcc_lo, 0, v6, vcc_lo
	s_delay_alu instid0(VALU_DEP_3) | instskip(SKIP_1) | instid1(VALU_DEP_2)
	v_cmp_ne_u32_e32 vcc_lo, 0, v10
	s_wait_alu 0xfffd
	v_dual_cndmask_b32 v5, v14, v12 :: v_dual_cndmask_b32 v10, v13, v11
	v_cmp_ne_u32_e32 vcc_lo, 0, v4
	s_wait_alu 0xfffd
	s_delay_alu instid0(VALU_DEP_2)
	v_dual_cndmask_b32 v6, v6, v5 :: v_dual_cndmask_b32 v5, v9, v10
.LBB0_4:                                ;   in Loop: Header=BB0_2 Depth=1
	s_wait_alu 0xfffe
	s_and_not1_saveexec_b32 s2, s26
	s_cbranch_execz .LBB0_6
; %bb.5:                                ;   in Loop: Header=BB0_2 Depth=1
	v_cvt_f32_u32_e32 v4, s24
	s_sub_co_i32 s26, 0, s24
	s_delay_alu instid0(VALU_DEP_1) | instskip(NEXT) | instid1(TRANS32_DEP_1)
	v_rcp_iflag_f32_e32 v4, v4
	v_mul_f32_e32 v4, 0x4f7ffffe, v4
	s_delay_alu instid0(VALU_DEP_1) | instskip(SKIP_1) | instid1(VALU_DEP_1)
	v_cvt_u32_f32_e32 v4, v4
	s_wait_alu 0xfffe
	v_mul_lo_u32 v5, s26, v4
	s_delay_alu instid0(VALU_DEP_1) | instskip(NEXT) | instid1(VALU_DEP_1)
	v_mul_hi_u32 v5, v4, v5
	v_add_nc_u32_e32 v4, v4, v5
	s_delay_alu instid0(VALU_DEP_1) | instskip(NEXT) | instid1(VALU_DEP_1)
	v_mul_hi_u32 v4, v7, v4
	v_mul_lo_u32 v5, v4, s24
	v_add_nc_u32_e32 v6, 1, v4
	s_delay_alu instid0(VALU_DEP_2) | instskip(NEXT) | instid1(VALU_DEP_1)
	v_sub_nc_u32_e32 v5, v7, v5
	v_subrev_nc_u32_e32 v9, s24, v5
	v_cmp_le_u32_e32 vcc_lo, s24, v5
	s_wait_alu 0xfffd
	s_delay_alu instid0(VALU_DEP_2) | instskip(NEXT) | instid1(VALU_DEP_1)
	v_dual_cndmask_b32 v5, v5, v9 :: v_dual_cndmask_b32 v4, v4, v6
	v_cmp_le_u32_e32 vcc_lo, s24, v5
	s_delay_alu instid0(VALU_DEP_2) | instskip(SKIP_1) | instid1(VALU_DEP_1)
	v_add_nc_u32_e32 v6, 1, v4
	s_wait_alu 0xfffd
	v_dual_cndmask_b32 v5, v4, v6 :: v_dual_mov_b32 v6, v3
.LBB0_6:                                ;   in Loop: Header=BB0_2 Depth=1
	s_wait_alu 0xfffe
	s_or_b32 exec_lo, exec_lo, s2
	s_delay_alu instid0(VALU_DEP_1) | instskip(NEXT) | instid1(VALU_DEP_2)
	v_mul_lo_u32 v4, v6, s24
	v_mul_lo_u32 v11, v5, s25
	s_load_b64 s[26:27], s[18:19], 0x0
	v_mad_co_u64_u32 v[9:10], null, v5, s24, 0
	s_load_b64 s[24:25], s[16:17], 0x0
	s_add_nc_u64 s[20:21], s[20:21], 1
	s_add_nc_u64 s[16:17], s[16:17], 8
	s_wait_alu 0xfffe
	v_cmp_ge_u64_e64 s2, s[20:21], s[10:11]
	s_add_nc_u64 s[18:19], s[18:19], 8
	s_add_nc_u64 s[22:23], s[22:23], 8
	v_add3_u32 v4, v10, v11, v4
	v_sub_co_u32 v7, vcc_lo, v7, v9
	s_wait_alu 0xfffd
	s_delay_alu instid0(VALU_DEP_2) | instskip(SKIP_2) | instid1(VALU_DEP_1)
	v_sub_co_ci_u32_e32 v4, vcc_lo, v8, v4, vcc_lo
	s_and_b32 vcc_lo, exec_lo, s2
	s_wait_kmcnt 0x0
	v_mul_lo_u32 v8, s26, v4
	v_mul_lo_u32 v9, s27, v7
	v_mad_co_u64_u32 v[51:52], null, s26, v7, v[51:52]
	v_mul_lo_u32 v4, s24, v4
	v_mul_lo_u32 v10, s25, v7
	v_mad_co_u64_u32 v[1:2], null, s24, v7, v[1:2]
	s_delay_alu instid0(VALU_DEP_4) | instskip(NEXT) | instid1(VALU_DEP_2)
	v_add3_u32 v52, v9, v52, v8
	v_add3_u32 v2, v10, v2, v4
	s_wait_alu 0xfffe
	s_cbranch_vccnz .LBB0_9
; %bb.7:                                ;   in Loop: Header=BB0_2 Depth=1
	v_dual_mov_b32 v8, v6 :: v_dual_mov_b32 v7, v5
	s_branch .LBB0_2
.LBB0_8:
	v_dual_mov_b32 v1, v51 :: v_dual_mov_b32 v2, v52
	v_dual_mov_b32 v5, v7 :: v_dual_mov_b32 v6, v8
.LBB0_9:
	s_load_b64 s[0:1], s[0:1], 0x28
	v_mul_hi_u32 v4, 0x295fad5, v0
	s_lshl_b64 s[10:11], s[10:11], 3
                                        ; implicit-def: $vgpr3
	s_wait_alu 0xfffe
	s_add_nc_u64 s[2:3], s[14:15], s[10:11]
                                        ; implicit-def: $sgpr14
	s_wait_kmcnt 0x0
	v_cmp_gt_u64_e32 vcc_lo, s[0:1], v[5:6]
	v_cmp_le_u64_e64 s0, s[0:1], v[5:6]
	s_delay_alu instid0(VALU_DEP_1)
	s_and_saveexec_b32 s1, s0
	s_wait_alu 0xfffe
	s_xor_b32 s0, exec_lo, s1
; %bb.10:
	v_mul_u32_u24_e32 v3, 0x63, v4
	s_mov_b32 s14, 0
                                        ; implicit-def: $vgpr4
                                        ; implicit-def: $vgpr51_vgpr52
	s_delay_alu instid0(VALU_DEP_1)
	v_sub_nc_u32_e32 v3, v0, v3
                                        ; implicit-def: $vgpr0
; %bb.11:
	s_wait_alu 0xfffe
	s_or_saveexec_b32 s1, s0
	s_load_b64 s[2:3], s[2:3], 0x0
	v_dual_mov_b32 v12, s14 :: v_dual_mov_b32 v11, s14
                                        ; implicit-def: $vgpr42
                                        ; implicit-def: $vgpr50
                                        ; implicit-def: $vgpr48
                                        ; implicit-def: $vgpr38
                                        ; implicit-def: $vgpr34
                                        ; implicit-def: $vgpr30
                                        ; implicit-def: $vgpr32
                                        ; implicit-def: $vgpr40
                                        ; implicit-def: $vgpr44
                                        ; implicit-def: $vgpr28
                                        ; implicit-def: $vgpr26
                                        ; implicit-def: $vgpr18
                                        ; implicit-def: $vgpr14
                                        ; implicit-def: $vgpr8
                                        ; implicit-def: $vgpr22
                                        ; implicit-def: $vgpr24
                                        ; implicit-def: $vgpr20
                                        ; implicit-def: $vgpr16
                                        ; implicit-def: $vgpr10
                                        ; implicit-def: $vgpr46
                                        ; implicit-def: $vgpr36
	s_xor_b32 exec_lo, exec_lo, s1
	s_cbranch_execz .LBB0_15
; %bb.12:
	s_add_nc_u64 s[10:11], s[12:13], s[10:11]
	v_mov_b32_e32 v11, 0
	s_load_b64 s[10:11], s[10:11], 0x0
                                        ; implicit-def: $vgpr15
                                        ; implicit-def: $vgpr19
                                        ; implicit-def: $vgpr23
                                        ; implicit-def: $vgpr21
                                        ; implicit-def: $vgpr13
                                        ; implicit-def: $vgpr17
                                        ; implicit-def: $vgpr25
                                        ; implicit-def: $vgpr27
	v_mov_b32_e32 v12, 0
	s_wait_kmcnt 0x0
	v_mul_lo_u32 v3, s11, v5
	v_mul_lo_u32 v9, s10, v6
	v_mad_co_u64_u32 v[7:8], null, s10, v5, 0
	s_delay_alu instid0(VALU_DEP_1) | instskip(SKIP_2) | instid1(VALU_DEP_3)
	v_add3_u32 v8, v8, v9, v3
	v_mul_u32_u24_e32 v3, 0x63, v4
	v_lshlrev_b64_e32 v[9:10], 3, v[51:52]
	v_lshlrev_b64_e32 v[7:8], 3, v[7:8]
	s_delay_alu instid0(VALU_DEP_3) | instskip(NEXT) | instid1(VALU_DEP_2)
	v_sub_nc_u32_e32 v3, v0, v3
	v_add_co_u32 v0, s0, s4, v7
	s_wait_alu 0xf1ff
	s_delay_alu instid0(VALU_DEP_3) | instskip(NEXT) | instid1(VALU_DEP_3)
	v_add_co_ci_u32_e64 v4, s0, s5, v8, s0
	v_lshlrev_b32_e32 v7, 3, v3
	s_delay_alu instid0(VALU_DEP_3) | instskip(SKIP_1) | instid1(VALU_DEP_3)
	v_add_co_u32 v0, s0, v0, v9
	s_wait_alu 0xf1ff
	v_add_co_ci_u32_e64 v4, s0, v4, v10, s0
	s_mov_b32 s4, exec_lo
	s_delay_alu instid0(VALU_DEP_2) | instskip(SKIP_1) | instid1(VALU_DEP_2)
	v_add_co_u32 v51, s0, v0, v7
	s_wait_alu 0xf1ff
	v_add_co_ci_u32_e64 v52, s0, 0, v4, s0
                                        ; implicit-def: $vgpr9
                                        ; implicit-def: $vgpr7
	s_clause 0xa
	global_load_b64 v[41:42], v[51:52], off
	global_load_b64 v[49:50], v[51:52], off offset:1296
	global_load_b64 v[47:48], v[51:52], off offset:2592
	;; [unrolled: 1-line block ×10, first 2 shown]
	v_cmpx_gt_u32_e32 63, v3
; %bb.13:
	s_clause 0xa
	global_load_b64 v[11:12], v[51:52], off offset:792
	global_load_b64 v[27:28], v[51:52], off offset:2088
	;; [unrolled: 1-line block ×11, first 2 shown]
; %bb.14:
	s_wait_alu 0xfffe
	s_or_b32 exec_lo, exec_lo, s4
.LBB0_15:
	s_delay_alu instid0(SALU_CYCLE_1)
	s_or_b32 exec_lo, exec_lo, s1
	s_wait_loadcnt 0x1
	v_dual_add_f32 v0, v41, v49 :: v_dual_sub_f32 v53, v48, v46
	s_wait_loadcnt 0x0
	v_dual_sub_f32 v4, v50, v44 :: v_dual_add_f32 v51, v49, v43
	v_add_f32_e32 v52, v45, v47
	s_delay_alu instid0(VALU_DEP_3) | instskip(SKIP_1) | instid1(VALU_DEP_4)
	v_add_f32_e32 v0, v0, v47
	v_cmp_gt_u32_e64 s0, 63, v3
	v_mul_f32_e32 v57, 0xbf4178ce, v4
	v_mul_f32_e32 v54, 0xbf0a6770, v4
	s_delay_alu instid0(VALU_DEP_4) | instskip(NEXT) | instid1(VALU_DEP_3)
	v_dual_mul_f32 v55, 0xbf68dda4, v4 :: v_dual_add_f32 v0, v0, v37
	v_fmamk_f32 v64, v51, 0xbf27a4f4, v57
	s_delay_alu instid0(VALU_DEP_3) | instskip(SKIP_1) | instid1(VALU_DEP_2)
	v_fmamk_f32 v61, v51, 0x3f575c64, v54
	v_fma_f32 v57, 0xbf27a4f4, v51, -v57
	v_add_f32_e32 v61, v61, v41
	s_delay_alu instid0(VALU_DEP_2)
	v_add_f32_e32 v57, v57, v41
	v_mul_f32_e32 v58, 0xbf68dda4, v53
	v_fmamk_f32 v62, v51, 0x3ed4b147, v55
	v_fma_f32 v55, 0x3ed4b147, v51, -v55
	v_mul_f32_e32 v56, 0xbf7d64f0, v4
	v_fma_f32 v54, 0x3f575c64, v51, -v54
	v_add_f32_e32 v64, v64, v41
	s_delay_alu instid0(VALU_DEP_4) | instskip(NEXT) | instid1(VALU_DEP_4)
	v_add_f32_e32 v55, v55, v41
	v_dual_add_f32 v0, v0, v33 :: v_dual_fmamk_f32 v63, v51, 0xbe11bafb, v56
	v_mul_f32_e32 v4, 0xbe903f40, v4
	v_fma_f32 v56, 0xbe11bafb, v51, -v56
	v_add_f32_e32 v54, v54, v41
	s_delay_alu instid0(VALU_DEP_4) | instskip(NEXT) | instid1(VALU_DEP_4)
	v_add_f32_e32 v63, v63, v41
	v_dual_add_f32 v0, v0, v29 :: v_dual_fmamk_f32 v65, v51, 0xbf75a155, v4
	v_mul_f32_e32 v59, 0xbf4178ce, v53
	v_fma_f32 v4, 0xbf75a155, v51, -v4
	v_fmamk_f32 v51, v52, 0x3ed4b147, v58
	s_delay_alu instid0(VALU_DEP_4)
	v_add_f32_e32 v0, v0, v31
	v_add_f32_e32 v62, v62, v41
	;; [unrolled: 1-line block ×7, first 2 shown]
	v_fma_f32 v58, 0x3ed4b147, v52, -v58
	v_mul_f32_e32 v60, 0x3e903f40, v53
	s_delay_alu instid0(VALU_DEP_2) | instskip(SKIP_2) | instid1(VALU_DEP_4)
	v_dual_fmamk_f32 v66, v52, 0xbf27a4f4, v59 :: v_dual_add_f32 v51, v54, v58
	v_fma_f32 v54, 0xbf27a4f4, v52, -v59
	v_mul_f32_e32 v58, 0x3f7d64f0, v53
	v_fmamk_f32 v59, v52, 0xbf75a155, v60
	v_fma_f32 v60, 0xbf75a155, v52, -v60
	s_delay_alu instid0(VALU_DEP_4) | instskip(NEXT) | instid1(VALU_DEP_4)
	v_dual_mul_f32 v53, 0x3f0a6770, v53 :: v_dual_add_f32 v54, v55, v54
	v_fmamk_f32 v55, v52, 0xbe11bafb, v58
	s_delay_alu instid0(VALU_DEP_4) | instskip(SKIP_3) | instid1(VALU_DEP_3)
	v_add_f32_e32 v59, v63, v59
	v_dual_add_f32 v0, v0, v39 :: v_dual_add_f32 v61, v62, v66
	v_fma_f32 v58, 0xbe11bafb, v52, -v58
	v_dual_add_f32 v63, v37, v39 :: v_dual_add_f32 v56, v56, v60
	v_add_f32_e32 v0, v45, v0
	v_sub_f32_e32 v60, v38, v40
	v_fmamk_f32 v62, v52, 0x3f575c64, v53
	v_fma_f32 v52, 0x3f575c64, v52, -v53
	v_add_f32_e32 v53, v57, v58
	s_delay_alu instid0(VALU_DEP_4) | instskip(NEXT) | instid1(VALU_DEP_3)
	v_dual_add_f32 v55, v64, v55 :: v_dual_mul_f32 v64, 0xbf7d64f0, v60
	v_dual_add_f32 v57, v65, v62 :: v_dual_add_f32 v4, v4, v52
	s_delay_alu instid0(VALU_DEP_2) | instskip(SKIP_1) | instid1(VALU_DEP_2)
	v_fmamk_f32 v62, v63, 0xbe11bafb, v64
	v_fma_f32 v52, 0xbe11bafb, v63, -v64
	v_add_f32_e32 v41, v62, v41
	s_delay_alu instid0(VALU_DEP_2) | instskip(NEXT) | instid1(VALU_DEP_1)
	v_dual_add_f32 v51, v52, v51 :: v_dual_mul_f32 v64, 0x3f68dda4, v60
	v_fmamk_f32 v52, v63, 0x3ed4b147, v64
	v_fma_f32 v62, 0x3ed4b147, v63, -v64
	s_delay_alu instid0(VALU_DEP_2) | instskip(NEXT) | instid1(VALU_DEP_1)
	v_dual_add_f32 v52, v52, v59 :: v_dual_mul_f32 v59, 0xbf4178ce, v60
	v_fmamk_f32 v64, v63, 0xbf27a4f4, v59
	s_delay_alu instid0(VALU_DEP_1) | instskip(NEXT) | instid1(VALU_DEP_1)
	v_dual_mul_f32 v58, 0x3e903f40, v60 :: v_dual_add_f32 v57, v64, v57
	v_dual_add_f32 v0, v0, v43 :: v_dual_fmamk_f32 v65, v63, 0xbf75a155, v58
	v_fma_f32 v58, 0xbf75a155, v63, -v58
	s_delay_alu instid0(VALU_DEP_2) | instskip(NEXT) | instid1(VALU_DEP_2)
	v_add_f32_e32 v61, v65, v61
	v_dual_add_f32 v65, v35, v33 :: v_dual_add_f32 v54, v58, v54
	v_mul_f32_e32 v58, 0xbf0a6770, v60
	v_add_f32_e32 v56, v62, v56
	v_sub_f32_e32 v60, v34, v36
	s_delay_alu instid0(VALU_DEP_3) | instskip(SKIP_1) | instid1(VALU_DEP_2)
	v_fmamk_f32 v62, v63, 0x3f575c64, v58
	v_fma_f32 v58, 0x3f575c64, v63, -v58
	v_dual_add_f32 v55, v62, v55 :: v_dual_mul_f32 v66, 0xbf4178ce, v60
	s_delay_alu instid0(VALU_DEP_2) | instskip(SKIP_2) | instid1(VALU_DEP_2)
	v_add_f32_e32 v53, v58, v53
	v_fma_f32 v58, 0xbf27a4f4, v63, -v59
	v_mul_f32_e32 v62, 0x3f7d64f0, v60
	v_dual_fmamk_f32 v59, v65, 0xbf27a4f4, v66 :: v_dual_add_f32 v4, v58, v4
	s_delay_alu instid0(VALU_DEP_1) | instskip(NEXT) | instid1(VALU_DEP_3)
	v_add_f32_e32 v41, v41, v59
	v_fmamk_f32 v59, v65, 0xbe11bafb, v62
	s_delay_alu instid0(VALU_DEP_1) | instskip(NEXT) | instid1(VALU_DEP_1)
	v_dual_add_f32 v59, v61, v59 :: v_dual_mul_f32 v64, 0xbe903f40, v60
	v_fmamk_f32 v61, v65, 0xbf75a155, v64
	s_delay_alu instid0(VALU_DEP_1) | instskip(SKIP_1) | instid1(VALU_DEP_1)
	v_dual_mul_f32 v58, 0xbf0a6770, v60 :: v_dual_add_f32 v55, v55, v61
	v_fma_f32 v63, 0xbf27a4f4, v65, -v66
	v_dual_add_f32 v51, v51, v63 :: v_dual_mul_f32 v60, 0x3f68dda4, v60
	s_delay_alu instid0(VALU_DEP_3) | instskip(SKIP_1) | instid1(VALU_DEP_1)
	v_fmamk_f32 v63, v65, 0x3f575c64, v58
	v_fma_f32 v58, 0x3f575c64, v65, -v58
	v_dual_fmamk_f32 v61, v65, 0x3ed4b147, v60 :: v_dual_add_f32 v56, v56, v58
	v_sub_f32_e32 v58, v30, v32
	s_delay_alu instid0(VALU_DEP_2) | instskip(SKIP_1) | instid1(VALU_DEP_1)
	v_dual_add_f32 v52, v52, v63 :: v_dual_add_f32 v57, v57, v61
	v_fma_f32 v62, 0xbe11bafb, v65, -v62
	v_dual_add_f32 v63, v29, v31 :: v_dual_add_f32 v54, v54, v62
	v_fma_f32 v62, 0xbf75a155, v65, -v64
	v_mul_f32_e32 v64, 0xbe903f40, v58
	s_delay_alu instid0(VALU_DEP_2) | instskip(NEXT) | instid1(VALU_DEP_2)
	v_add_f32_e32 v53, v53, v62
	v_fmamk_f32 v61, v63, 0xbf75a155, v64
	v_fma_f32 v64, 0xbf75a155, v63, -v64
	s_delay_alu instid0(VALU_DEP_2) | instskip(NEXT) | instid1(VALU_DEP_2)
	v_dual_mul_f32 v62, 0x3f0a6770, v58 :: v_dual_add_f32 v41, v61, v41
	v_add_f32_e32 v51, v64, v51
	v_fma_f32 v60, 0x3ed4b147, v65, -v60
	v_mul_f32_e32 v65, 0xbf4178ce, v58
	s_delay_alu instid0(VALU_DEP_4) | instskip(NEXT) | instid1(VALU_DEP_3)
	v_fma_f32 v61, 0x3f575c64, v63, -v62
	v_add_f32_e32 v4, v4, v60
	v_fmamk_f32 v60, v63, 0x3f575c64, v62
	v_mul_f32_e32 v62, 0x3f68dda4, v58
	v_mul_f32_e32 v58, 0xbf7d64f0, v58
	v_add_f32_e32 v54, v61, v54
	v_fma_f32 v64, 0xbf27a4f4, v63, -v65
	v_dual_add_f32 v59, v60, v59 :: v_dual_fmamk_f32 v60, v63, 0xbf27a4f4, v65
	v_fma_f32 v61, 0x3ed4b147, v63, -v62
	s_delay_alu instid0(VALU_DEP_2) | instskip(SKIP_4) | instid1(VALU_DEP_3)
	v_add_f32_e32 v52, v60, v52
	v_fmamk_f32 v60, v63, 0x3ed4b147, v62
	v_fmamk_f32 v62, v63, 0xbe11bafb, v58
	v_fma_f32 v58, 0xbe11bafb, v63, -v58
	v_dual_add_f32 v53, v61, v53 :: v_dual_add_f32 v56, v64, v56
	v_dual_add_f32 v60, v60, v55 :: v_dual_add_f32 v57, v62, v57
	v_mad_u32_u24 v55, v3, 44, 0
	s_delay_alu instid0(VALU_DEP_4)
	v_add_f32_e32 v4, v58, v4
	ds_store_2addr_b32 v55, v0, v41 offset1:1
	ds_store_2addr_b32 v55, v59, v52 offset0:2 offset1:3
	ds_store_2addr_b32 v55, v60, v57 offset0:4 offset1:5
	;; [unrolled: 1-line block ×4, first 2 shown]
	ds_store_b32 v55, v51 offset:40
	s_and_saveexec_b32 s1, s0
	s_cbranch_execz .LBB0_17
; %bb.16:
	v_dual_add_f32 v0, v27, v21 :: v_dual_add_f32 v41, v25, v23
	v_dual_sub_f32 v4, v28, v22 :: v_dual_sub_f32 v51, v26, v24
	s_delay_alu instid0(VALU_DEP_2) | instskip(SKIP_1) | instid1(VALU_DEP_4)
	v_dual_add_f32 v52, v17, v19 :: v_dual_mul_f32 v53, 0xbf75a155, v0
	v_sub_f32_e32 v54, v18, v20
	v_dual_mul_f32 v58, 0x3f575c64, v41 :: v_dual_sub_f32 v61, v8, v10
	v_dual_add_f32 v56, v13, v15 :: v_dual_sub_f32 v57, v14, v16
	s_delay_alu instid0(VALU_DEP_4) | instskip(SKIP_3) | instid1(VALU_DEP_4)
	v_dual_fmamk_f32 v59, v4, 0x3e903f40, v53 :: v_dual_add_f32 v60, v7, v9
	v_fmac_f32_e32 v53, 0xbe903f40, v4
	v_mul_f32_e32 v62, 0xbf27a4f4, v52
	v_fmamk_f32 v63, v51, 0xbf0a6770, v58
	v_dual_add_f32 v59, v11, v59 :: v_dual_mul_f32 v64, 0x3ed4b147, v56
	s_delay_alu instid0(VALU_DEP_3) | instskip(NEXT) | instid1(VALU_DEP_2)
	v_dual_add_f32 v53, v11, v53 :: v_dual_fmamk_f32 v66, v54, 0x3f4178ce, v62
	v_dual_mul_f32 v70, 0xbf27a4f4, v60 :: v_dual_add_f32 v59, v59, v63
	v_mul_f32_e32 v63, 0xbf27a4f4, v0
	v_fmac_f32_e32 v58, 0x3f0a6770, v51
	v_fmamk_f32 v67, v57, 0xbf68dda4, v64
	s_delay_alu instid0(VALU_DEP_4)
	v_fmamk_f32 v71, v61, 0x3f4178ce, v70
	v_add_f32_e32 v59, v59, v66
	v_mul_f32_e32 v69, 0xbf75a155, v41
	v_dual_add_f32 v53, v53, v58 :: v_dual_fmamk_f32 v58, v4, 0x3f4178ce, v63
	v_mul_f32_e32 v65, 0xbe11bafb, v60
	v_fmac_f32_e32 v64, 0x3f68dda4, v57
	v_dual_fmac_f32 v62, 0xbf4178ce, v54 :: v_dual_add_f32 v59, v59, v67
	v_dual_mul_f32 v67, 0xbe11bafb, v41 :: v_dual_mul_f32 v68, 0xbe11bafb, v0
	v_add_f32_e32 v58, v11, v58
	v_fmamk_f32 v66, v61, 0x3f7d64f0, v65
	s_delay_alu instid0(VALU_DEP_4) | instskip(SKIP_1) | instid1(VALU_DEP_3)
	v_add_f32_e32 v53, v53, v62
	v_fmac_f32_e32 v65, 0xbf7d64f0, v61
	v_dual_fmac_f32 v70, 0xbf4178ce, v61 :: v_dual_add_f32 v59, v59, v66
	v_mul_f32_e32 v66, 0x3f575c64, v52
	s_delay_alu instid0(VALU_DEP_4) | instskip(SKIP_1) | instid1(VALU_DEP_2)
	v_dual_add_f32 v53, v53, v64 :: v_dual_fmamk_f32 v62, v51, 0xbf7d64f0, v67
	v_fmac_f32_e32 v67, 0x3f7d64f0, v51
	v_dual_add_f32 v53, v53, v65 :: v_dual_add_f32 v58, v58, v62
	s_delay_alu instid0(VALU_DEP_4) | instskip(SKIP_1) | instid1(VALU_DEP_2)
	v_fmamk_f32 v62, v54, 0x3f0a6770, v66
	v_fmac_f32_e32 v66, 0xbf0a6770, v54
	v_dual_mul_f32 v65, 0x3ed4b147, v60 :: v_dual_add_f32 v58, v58, v62
	v_fmac_f32_e32 v63, 0xbf4178ce, v4
	s_delay_alu instid0(VALU_DEP_1) | instskip(NEXT) | instid1(VALU_DEP_1)
	v_dual_add_f32 v63, v11, v63 :: v_dual_mul_f32 v64, 0xbf75a155, v56
	v_dual_add_f32 v63, v63, v67 :: v_dual_fmamk_f32 v62, v57, 0x3e903f40, v64
	v_fmamk_f32 v67, v4, 0x3f7d64f0, v68
	v_fmac_f32_e32 v68, 0xbf7d64f0, v4
	s_delay_alu instid0(VALU_DEP_3) | instskip(NEXT) | instid1(VALU_DEP_4)
	v_dual_fmac_f32 v64, 0xbe903f40, v57 :: v_dual_add_f32 v63, v63, v66
	v_add_f32_e32 v58, v58, v62
	v_fmamk_f32 v66, v51, 0xbe903f40, v69
	s_delay_alu instid0(VALU_DEP_3) | instskip(NEXT) | instid1(VALU_DEP_1)
	v_dual_add_f32 v63, v63, v64 :: v_dual_fmamk_f32 v62, v61, 0xbf68dda4, v65
	v_add_f32_e32 v58, v58, v62
	v_dual_add_f32 v62, v11, v67 :: v_dual_mul_f32 v67, 0x3ed4b147, v52
	s_delay_alu instid0(VALU_DEP_1) | instskip(NEXT) | instid1(VALU_DEP_2)
	v_add_f32_e32 v62, v62, v66
	v_fmamk_f32 v64, v54, 0xbf68dda4, v67
	v_mul_f32_e32 v66, 0x3f575c64, v56
	s_delay_alu instid0(VALU_DEP_2) | instskip(NEXT) | instid1(VALU_DEP_2)
	v_add_f32_e32 v62, v62, v64
	v_fmamk_f32 v64, v57, 0x3f0a6770, v66
	v_fmac_f32_e32 v66, 0xbf0a6770, v57
	s_delay_alu instid0(VALU_DEP_2) | instskip(NEXT) | instid1(VALU_DEP_1)
	v_add_f32_e32 v62, v62, v64
	v_dual_add_f32 v62, v62, v71 :: v_dual_fmac_f32 v65, 0x3f68dda4, v61
	s_delay_alu instid0(VALU_DEP_1) | instskip(SKIP_3) | instid1(VALU_DEP_2)
	v_add_f32_e32 v63, v63, v65
	v_add_f32_e32 v65, v11, v68
	v_mul_f32_e32 v68, 0x3ed4b147, v0
	v_mul_f32_e32 v0, 0x3f575c64, v0
	v_fmamk_f32 v64, v4, 0x3f68dda4, v68
	s_delay_alu instid0(VALU_DEP_1) | instskip(NEXT) | instid1(VALU_DEP_1)
	v_dual_fmac_f32 v69, 0x3e903f40, v51 :: v_dual_add_f32 v64, v11, v64
	v_add_f32_e32 v65, v65, v69
	v_mul_f32_e32 v69, 0xbf27a4f4, v41
	v_mul_f32_e32 v41, 0x3ed4b147, v41
	v_fmac_f32_e32 v68, 0xbf68dda4, v4
	s_delay_alu instid0(VALU_DEP_1) | instskip(NEXT) | instid1(VALU_DEP_1)
	v_dual_fmac_f32 v67, 0x3f68dda4, v54 :: v_dual_add_f32 v68, v11, v68
	v_add_f32_e32 v65, v65, v67
	v_fmamk_f32 v67, v51, 0x3f4178ce, v69
	v_fmac_f32_e32 v69, 0xbf4178ce, v51
	s_delay_alu instid0(VALU_DEP_1) | instskip(NEXT) | instid1(VALU_DEP_3)
	v_dual_add_f32 v65, v65, v66 :: v_dual_add_f32 v68, v68, v69
	v_dual_add_f32 v64, v64, v67 :: v_dual_mul_f32 v67, 0xbe11bafb, v56
	s_delay_alu instid0(VALU_DEP_2) | instskip(NEXT) | instid1(VALU_DEP_1)
	v_dual_add_f32 v65, v65, v70 :: v_dual_add_f32 v70, v11, v27
	v_dual_mul_f32 v56, 0xbf27a4f4, v56 :: v_dual_add_f32 v69, v70, v25
	s_delay_alu instid0(VALU_DEP_1) | instskip(SKIP_2) | instid1(VALU_DEP_3)
	v_add_f32_e32 v69, v69, v17
	v_fmamk_f32 v71, v4, 0x3f0a6770, v0
	v_fmac_f32_e32 v0, 0xbf0a6770, v4
	v_dual_add_f32 v4, v69, v13 :: v_dual_fmamk_f32 v69, v51, 0x3f68dda4, v41
	v_fmac_f32_e32 v41, 0xbf68dda4, v51
	s_delay_alu instid0(VALU_DEP_2) | instskip(SKIP_3) | instid1(VALU_DEP_2)
	v_add_f32_e32 v4, v4, v7
	v_mul_f32_e32 v72, 0xbf75a155, v52
	v_mul_f32_e32 v52, 0xbe11bafb, v52
	v_add_f32_e32 v0, v11, v0
	v_dual_add_f32 v4, v4, v9 :: v_dual_fmamk_f32 v51, v54, 0x3f7d64f0, v52
	s_delay_alu instid0(VALU_DEP_4) | instskip(SKIP_1) | instid1(VALU_DEP_4)
	v_fmamk_f32 v66, v54, 0xbe903f40, v72
	v_fmac_f32_e32 v72, 0x3e903f40, v54
	v_dual_add_f32 v0, v0, v41 :: v_dual_fmamk_f32 v41, v57, 0x3f4178ce, v56
	v_fmac_f32_e32 v52, 0xbf7d64f0, v54
	s_delay_alu instid0(VALU_DEP_4) | instskip(SKIP_4) | instid1(VALU_DEP_3)
	v_add_f32_e32 v64, v64, v66
	v_fmamk_f32 v66, v57, 0xbf7d64f0, v67
	v_dual_add_f32 v68, v68, v72 :: v_dual_fmac_f32 v67, 0x3f7d64f0, v57
	v_fmac_f32_e32 v56, 0xbf4178ce, v57
	v_add_nc_u32_e32 v57, 0x1124, v55
	v_add_f32_e32 v67, v68, v67
	v_add_f32_e32 v68, v11, v71
	s_delay_alu instid0(VALU_DEP_1) | instskip(NEXT) | instid1(VALU_DEP_1)
	v_add_f32_e32 v11, v68, v69
	v_add_f32_e32 v11, v11, v51
	v_mul_f32_e32 v51, 0xbf75a155, v60
	v_add_f32_e32 v4, v15, v4
	s_delay_alu instid0(VALU_DEP_3) | instskip(NEXT) | instid1(VALU_DEP_3)
	v_dual_add_f32 v11, v11, v41 :: v_dual_add_f32 v64, v64, v66
	v_fmamk_f32 v41, v61, 0x3e903f40, v51
	v_mul_f32_e32 v66, 0x3f575c64, v60
	s_delay_alu instid0(VALU_DEP_4) | instskip(NEXT) | instid1(VALU_DEP_3)
	v_dual_fmac_f32 v51, 0xbe903f40, v61 :: v_dual_add_f32 v4, v19, v4
	v_dual_add_f32 v11, v11, v41 :: v_dual_add_nc_u32 v60, 0x1104, v55
	v_dual_add_f32 v0, v0, v52 :: v_dual_add_nc_u32 v41, 0x110c, v55
	s_delay_alu instid0(VALU_DEP_4) | instskip(SKIP_2) | instid1(VALU_DEP_4)
	v_fmamk_f32 v70, v61, 0xbf0a6770, v66
	v_fmac_f32_e32 v66, 0x3f0a6770, v61
	v_add_f32_e32 v4, v23, v4
	v_add_f32_e32 v0, v0, v56
	v_add_nc_u32_e32 v56, 0x111c, v55
	s_delay_alu instid0(VALU_DEP_4)
	v_add_f32_e32 v54, v67, v66
	v_add_f32_e32 v52, v64, v70
	;; [unrolled: 1-line block ×4, first 2 shown]
	v_add_nc_u32_e32 v51, 0x1114, v55
	ds_store_2addr_b32 v41, v54, v65 offset1:1
	ds_store_2addr_b32 v51, v63, v53 offset1:1
	;; [unrolled: 1-line block ×5, first 2 shown]
	ds_store_b32 v55, v11 offset:4396
.LBB0_17:
	s_wait_alu 0xfffe
	s_or_b32 exec_lo, exec_lo, s1
	v_add_f32_e32 v0, v42, v50
	v_dual_sub_f32 v4, v49, v43 :: v_dual_add_f32 v11, v50, v44
	v_sub_f32_e32 v43, v47, v45
	global_wb scope:SCOPE_SE
	s_wait_dscnt 0x0
	v_add_f32_e32 v0, v0, v48
	v_mul_f32_e32 v47, 0xbf68dda4, v4
	s_wait_kmcnt 0x0
	s_barrier_signal -1
	v_mul_f32_e32 v50, 0xbf68dda4, v43
	v_mul_f32_e32 v51, 0xbf4178ce, v43
	v_dual_add_f32 v41, v46, v48 :: v_dual_add_f32 v0, v0, v38
	v_mul_f32_e32 v45, 0xbf0a6770, v4
	v_fma_f32 v54, 0x3ed4b147, v11, -v47
	v_fmac_f32_e32 v47, 0x3ed4b147, v11
	s_delay_alu instid0(VALU_DEP_4) | instskip(SKIP_4) | instid1(VALU_DEP_3)
	v_fma_f32 v59, 0xbf27a4f4, v41, -v51
	v_dual_add_f32 v0, v0, v34 :: v_dual_mul_f32 v49, 0xbf4178ce, v4
	v_fma_f32 v53, 0x3f575c64, v11, -v45
	v_mul_f32_e32 v48, 0xbf7d64f0, v4
	s_barrier_wait -1
	v_dual_add_f32 v0, v0, v30 :: v_dual_fmac_f32 v45, 0x3f575c64, v11
	v_fma_f32 v57, 0xbf27a4f4, v11, -v49
	v_add_f32_e32 v53, v53, v42
	v_fma_f32 v56, 0xbe11bafb, v11, -v48
	s_delay_alu instid0(VALU_DEP_4) | instskip(SKIP_2) | instid1(VALU_DEP_3)
	v_dual_add_f32 v0, v0, v32 :: v_dual_fmac_f32 v49, 0xbf27a4f4, v11
	v_dual_mul_f32 v4, 0xbe903f40, v4 :: v_dual_add_f32 v45, v45, v42
	v_dual_fmac_f32 v48, 0xbe11bafb, v11 :: v_dual_add_f32 v57, v57, v42
	v_add_f32_e32 v0, v0, v36
	s_delay_alu instid0(VALU_DEP_3)
	v_fma_f32 v58, 0xbf75a155, v11, -v4
	v_fmac_f32_e32 v4, 0xbf75a155, v11
	v_fma_f32 v11, 0x3ed4b147, v41, -v50
	v_fmac_f32_e32 v50, 0x3ed4b147, v41
	v_dual_add_f32 v0, v0, v40 :: v_dual_fmac_f32 v51, 0xbf27a4f4, v41
	v_dual_mul_f32 v52, 0x3e903f40, v43 :: v_dual_add_f32 v47, v47, v42
	v_add_f32_e32 v56, v56, v42
	s_delay_alu instid0(VALU_DEP_3) | instskip(SKIP_2) | instid1(VALU_DEP_3)
	v_dual_add_f32 v0, v46, v0 :: v_dual_sub_f32 v37, v37, v39
	v_add_f32_e32 v48, v48, v42
	v_dual_add_f32 v46, v49, v42 :: v_dual_mul_f32 v39, 0x3f0a6770, v43
	v_dual_add_f32 v49, v58, v42 :: v_dual_add_f32 v58, v0, v44
	v_dual_add_f32 v0, v45, v50 :: v_dual_add_f32 v45, v47, v51
	v_dual_mul_f32 v47, 0x3f7d64f0, v43 :: v_dual_add_f32 v54, v54, v42
	v_dual_add_f32 v11, v53, v11 :: v_dual_add_f32 v4, v4, v42
	v_fma_f32 v50, 0x3f575c64, v41, -v39
	s_delay_alu instid0(VALU_DEP_3)
	v_fma_f32 v43, 0xbe11bafb, v41, -v47
	v_fmac_f32_e32 v47, 0xbe11bafb, v41
	v_fma_f32 v42, 0xbf75a155, v41, -v52
	v_fmac_f32_e32 v52, 0xbf75a155, v41
	v_add_f32_e32 v44, v54, v59
	v_add_f32_e32 v38, v38, v40
	v_dual_add_f32 v46, v46, v47 :: v_dual_fmac_f32 v39, 0x3f575c64, v41
	v_add_f32_e32 v47, v49, v50
	v_mul_f32_e32 v49, 0x3e903f40, v37
	v_mul_f32_e32 v40, 0xbf7d64f0, v37
	v_add_f32_e32 v48, v48, v52
	v_dual_add_f32 v4, v4, v39 :: v_dual_mul_f32 v39, 0x3f68dda4, v37
	v_add_f32_e32 v43, v57, v43
	s_delay_alu instid0(VALU_DEP_4) | instskip(SKIP_2) | instid1(VALU_DEP_3)
	v_fma_f32 v41, 0xbe11bafb, v38, -v40
	v_fmac_f32_e32 v40, 0xbe11bafb, v38
	v_dual_add_f32 v42, v56, v42 :: v_dual_sub_f32 v33, v33, v35
	v_dual_add_f32 v34, v36, v34 :: v_dual_add_f32 v11, v41, v11
	s_delay_alu instid0(VALU_DEP_3)
	v_add_f32_e32 v0, v40, v0
	v_mul_f32_e32 v40, 0xbf0a6770, v37
	v_mul_f32_e32 v37, 0xbf4178ce, v37
	v_fma_f32 v41, 0xbf75a155, v38, -v49
	v_fmac_f32_e32 v49, 0xbf75a155, v38
	v_fma_f32 v50, 0x3ed4b147, v38, -v39
	v_fmac_f32_e32 v39, 0x3ed4b147, v38
	global_inv scope:SCOPE_SE
	v_add_f32_e32 v41, v41, v44
	v_add_f32_e32 v44, v49, v45
	v_fma_f32 v45, 0x3f575c64, v38, -v40
	v_mul_f32_e32 v36, 0xbf4178ce, v33
	v_dual_add_f32 v42, v50, v42 :: v_dual_add_f32 v39, v39, v48
	v_sub_f32_e32 v29, v29, v31
	s_delay_alu instid0(VALU_DEP_4) | instskip(SKIP_2) | instid1(VALU_DEP_4)
	v_add_f32_e32 v35, v45, v43
	v_fma_f32 v43, 0xbf27a4f4, v38, -v37
	v_fmac_f32_e32 v37, 0xbf27a4f4, v38
	v_mul_f32_e32 v64, 0x3f68dda4, v29
	v_mul_f32_e32 v62, 0xbf4178ce, v29
	s_delay_alu instid0(VALU_DEP_3) | instskip(SKIP_2) | instid1(VALU_DEP_1)
	v_dual_mul_f32 v69, 0xbf7d64f0, v29 :: v_dual_add_f32 v4, v37, v4
	v_mul_f32_e32 v37, 0xbf0a6770, v33
	v_fma_f32 v45, 0xbf27a4f4, v34, -v36
	v_dual_fmac_f32 v40, 0x3f575c64, v38 :: v_dual_add_f32 v11, v11, v45
	s_delay_alu instid0(VALU_DEP_1) | instskip(SKIP_2) | instid1(VALU_DEP_2)
	v_add_f32_e32 v38, v40, v46
	v_dual_add_f32 v40, v43, v47 :: v_dual_mul_f32 v43, 0x3f7d64f0, v33
	v_add_f32_e32 v56, v30, v32
	v_fma_f32 v46, 0xbe11bafb, v34, -v43
	v_fmac_f32_e32 v43, 0xbe11bafb, v34
	s_delay_alu instid0(VALU_DEP_2) | instskip(NEXT) | instid1(VALU_DEP_2)
	v_add_f32_e32 v41, v41, v46
	v_dual_fmac_f32 v36, 0xbf27a4f4, v34 :: v_dual_add_f32 v43, v44, v43
	v_mul_f32_e32 v44, 0xbe903f40, v33
	s_delay_alu instid0(VALU_DEP_2) | instskip(SKIP_2) | instid1(VALU_DEP_4)
	v_dual_mul_f32 v33, 0x3f68dda4, v33 :: v_dual_add_f32 v0, v0, v36
	v_fma_f32 v36, 0x3f575c64, v34, -v37
	v_fmac_f32_e32 v37, 0x3f575c64, v34
	v_fma_f32 v31, 0xbf75a155, v34, -v44
	s_delay_alu instid0(VALU_DEP_1) | instskip(SKIP_1) | instid1(VALU_DEP_4)
	v_dual_add_f32 v36, v42, v36 :: v_dual_add_f32 v57, v35, v31
	v_fmac_f32_e32 v44, 0xbf75a155, v34
	v_add_f32_e32 v54, v39, v37
	v_fma_f32 v37, 0x3ed4b147, v34, -v33
	v_fmac_f32_e32 v33, 0x3ed4b147, v34
	v_mul_f32_e32 v30, 0xbe903f40, v29
	s_delay_alu instid0(VALU_DEP_2) | instskip(NEXT) | instid1(VALU_DEP_2)
	v_add_f32_e32 v61, v4, v33
	v_fma_f32 v31, 0xbf75a155, v56, -v30
	v_add_f32_e32 v59, v38, v44
	s_delay_alu instid0(VALU_DEP_2)
	v_add_f32_e32 v11, v31, v11
	v_fma_f32 v68, 0x3ed4b147, v56, -v64
	v_fmac_f32_e32 v64, 0x3ed4b147, v56
	v_mul_f32_e32 v32, 0x3f0a6770, v29
	v_fma_f32 v31, 0xbf27a4f4, v56, -v62
	v_fma_f32 v70, 0xbe11bafb, v56, -v69
	v_add_f32_e32 v57, v68, v57
	v_add_f32_e32 v59, v64, v59
	v_fma_f32 v4, 0x3f575c64, v56, -v32
	v_fmac_f32_e32 v32, 0x3f575c64, v56
	v_add_f32_e32 v67, v31, v36
	v_fmac_f32_e32 v30, 0xbf75a155, v56
	v_fmac_f32_e32 v69, 0xbe11bafb, v56
	v_add_f32_e32 v65, v4, v41
	v_add_f32_e32 v66, v32, v43
	s_delay_alu instid0(VALU_DEP_4) | instskip(SKIP_2) | instid1(VALU_DEP_3)
	v_dual_add_f32 v60, v40, v37 :: v_dual_add_f32 v63, v30, v0
	v_mad_i32_i24 v0, 0xffffffd8, v3, v55
	v_dual_fmac_f32 v62, 0xbf27a4f4, v56 :: v_dual_add_f32 v61, v69, v61
	v_add_f32_e32 v60, v70, v60
	s_delay_alu instid0(VALU_DEP_3) | instskip(NEXT) | instid1(VALU_DEP_3)
	v_add_nc_u32_e32 v50, 0xc00, v0
	v_dual_add_f32 v56, v62, v54 :: v_dual_add_nc_u32 v47, 0x800, v0
	v_add_nc_u32_e32 v49, 0x1400, v0
	v_add_nc_u32_e32 v4, 0x1200, v0
	;; [unrolled: 1-line block ×6, first 2 shown]
	ds_load_2addr_b32 v[31:32], v0 offset1:99
	ds_load_2addr_b32 v[37:38], v47 offset0:82 offset1:181
	ds_load_2addr_b32 v[35:36], v4 offset0:36 offset1:135
	;; [unrolled: 1-line block ×8, first 2 shown]
	v_add_nc_u32_e32 v54, 0x63, v3
	global_wb scope:SCOPE_SE
	s_wait_dscnt 0x0
	s_barrier_signal -1
	s_barrier_wait -1
	global_inv scope:SCOPE_SE
	ds_store_2addr_b32 v55, v58, v11 offset1:1
	ds_store_2addr_b32 v55, v65, v67 offset0:2 offset1:3
	ds_store_2addr_b32 v55, v57, v60 offset0:4 offset1:5
	;; [unrolled: 1-line block ×4, first 2 shown]
	ds_store_b32 v55, v63 offset:40
	s_and_saveexec_b32 s1, s0
	s_cbranch_execz .LBB0_19
; %bb.18:
	v_sub_f32_e32 v21, v27, v21
	v_add_f32_e32 v11, v12, v28
	v_dual_add_f32 v27, v28, v22 :: v_dual_add_f32 v28, v26, v24
	v_sub_f32_e32 v23, v25, v23
	s_delay_alu instid0(VALU_DEP_4)
	v_mul_f32_e32 v25, 0xbf0a6770, v21
	v_mul_f32_e32 v56, 0xbf4178ce, v21
	;; [unrolled: 1-line block ×3, first 2 shown]
	v_sub_f32_e32 v17, v17, v19
	v_sub_f32_e32 v7, v7, v9
	v_fma_f32 v60, 0x3f575c64, v27, -v25
	v_fma_f32 v63, 0xbf27a4f4, v27, -v56
	;; [unrolled: 1-line block ×3, first 2 shown]
	v_fmac_f32_e32 v56, 0xbf27a4f4, v27
	s_delay_alu instid0(VALU_DEP_4) | instskip(SKIP_3) | instid1(VALU_DEP_4)
	v_dual_add_f32 v60, v12, v60 :: v_dual_add_f32 v11, v11, v26
	v_mul_f32_e32 v58, 0xbf4178ce, v23
	v_mul_f32_e32 v26, 0xbf68dda4, v21
	v_dual_add_f32 v62, v12, v62 :: v_dual_fmac_f32 v55, 0xbe11bafb, v27
	v_add_f32_e32 v11, v11, v18
	s_delay_alu instid0(VALU_DEP_4) | instskip(NEXT) | instid1(VALU_DEP_4)
	v_fma_f32 v65, 0xbf27a4f4, v28, -v58
	v_fma_f32 v61, 0x3ed4b147, v27, -v26
	v_fmac_f32_e32 v26, 0x3ed4b147, v27
	s_delay_alu instid0(VALU_DEP_4) | instskip(NEXT) | instid1(VALU_DEP_3)
	v_dual_fmac_f32 v58, 0xbf27a4f4, v28 :: v_dual_add_f32 v11, v11, v14
	v_dual_add_f32 v18, v18, v20 :: v_dual_add_f32 v61, v12, v61
	s_delay_alu instid0(VALU_DEP_3) | instskip(SKIP_2) | instid1(VALU_DEP_3)
	v_dual_add_f32 v26, v12, v26 :: v_dual_fmac_f32 v25, 0x3f575c64, v27
	v_mul_f32_e32 v21, 0xbe903f40, v21
	v_mul_f32_e32 v19, 0x3f0a6770, v23
	v_dual_add_f32 v63, v12, v63 :: v_dual_add_f32 v26, v26, v58
	s_delay_alu instid0(VALU_DEP_4) | instskip(SKIP_1) | instid1(VALU_DEP_4)
	v_add_f32_e32 v25, v12, v25
	v_add_f32_e32 v11, v11, v8
	v_fma_f32 v58, 0x3f575c64, v28, -v19
	v_add_f32_e32 v55, v12, v55
	v_fmac_f32_e32 v19, 0x3f575c64, v28
	s_delay_alu instid0(VALU_DEP_4) | instskip(SKIP_2) | instid1(VALU_DEP_2)
	v_dual_add_f32 v14, v14, v16 :: v_dual_add_f32 v11, v11, v10
	v_dual_add_f32 v8, v8, v10 :: v_dual_sub_f32 v13, v13, v15
	v_mul_f32_e32 v10, 0xbe903f40, v7
	v_dual_add_f32 v11, v16, v11 :: v_dual_mul_f32 v16, 0xbf4178ce, v13
	s_delay_alu instid0(VALU_DEP_1) | instskip(NEXT) | instid1(VALU_DEP_1)
	v_dual_add_f32 v11, v20, v11 :: v_dual_mul_f32 v20, 0xbf7d64f0, v17
	v_add_f32_e32 v11, v24, v11
	v_add_f32_e32 v24, v12, v56
	v_fma_f32 v64, 0xbf75a155, v27, -v21
	v_mul_f32_e32 v57, 0xbf68dda4, v23
	v_fmac_f32_e32 v21, 0xbf75a155, v27
	v_add_f32_e32 v11, v22, v11
	s_delay_alu instid0(VALU_DEP_4) | instskip(NEXT) | instid1(VALU_DEP_4)
	v_dual_mul_f32 v59, 0x3e903f40, v23 :: v_dual_add_f32 v56, v12, v64
	v_fma_f32 v27, 0x3ed4b147, v28, -v57
	s_delay_alu instid0(VALU_DEP_2) | instskip(NEXT) | instid1(VALU_DEP_1)
	v_dual_fmac_f32 v57, 0x3ed4b147, v28 :: v_dual_add_f32 v56, v56, v58
	v_dual_add_f32 v22, v25, v57 :: v_dual_mul_f32 v57, 0x3f7d64f0, v23
	s_delay_alu instid0(VALU_DEP_1) | instskip(SKIP_1) | instid1(VALU_DEP_1)
	v_fma_f32 v23, 0xbe11bafb, v28, -v57
	v_fmac_f32_e32 v57, 0xbe11bafb, v28
	v_add_f32_e32 v24, v24, v57
	v_add_f32_e32 v12, v12, v21
	;; [unrolled: 1-line block ×3, first 2 shown]
	v_fma_f32 v25, 0xbf75a155, v28, -v59
	v_fmac_f32_e32 v59, 0xbf75a155, v28
	v_fma_f32 v28, 0xbe11bafb, v18, -v20
	v_dual_add_f32 v12, v12, v19 :: v_dual_mul_f32 v57, 0x3e903f40, v17
	v_dual_fmac_f32 v20, 0xbe11bafb, v18 :: v_dual_add_f32 v27, v61, v65
	s_delay_alu instid0(VALU_DEP_3) | instskip(SKIP_1) | instid1(VALU_DEP_4)
	v_add_f32_e32 v19, v21, v28
	v_mul_f32_e32 v21, 0x3f68dda4, v17
	v_fma_f32 v28, 0xbf75a155, v18, -v57
	s_delay_alu instid0(VALU_DEP_4)
	v_add_f32_e32 v20, v22, v20
	v_mul_f32_e32 v22, 0xbf0a6770, v17
	v_mul_f32_e32 v17, 0xbf4178ce, v17
	v_fma_f32 v58, 0x3ed4b147, v18, -v21
	v_add_f32_e32 v27, v27, v28
	v_fmac_f32_e32 v21, 0x3ed4b147, v18
	v_fma_f32 v28, 0x3f575c64, v18, -v22
	v_dual_fmac_f32 v22, 0x3f575c64, v18 :: v_dual_add_f32 v23, v63, v23
	v_add_f32_e32 v25, v62, v25
	s_delay_alu instid0(VALU_DEP_2) | instskip(SKIP_2) | instid1(VALU_DEP_1)
	v_add_f32_e32 v15, v23, v28
	v_fma_f32 v23, 0xbf27a4f4, v18, -v17
	v_fmac_f32_e32 v17, 0xbf27a4f4, v18
	v_dual_add_f32 v12, v12, v17 :: v_dual_fmac_f32 v57, 0xbf75a155, v18
	v_add_f32_e32 v18, v24, v22
	s_delay_alu instid0(VALU_DEP_4) | instskip(SKIP_1) | instid1(VALU_DEP_4)
	v_dual_add_f32 v22, v56, v23 :: v_dual_mul_f32 v23, 0x3f7d64f0, v13
	v_fma_f32 v24, 0xbf27a4f4, v14, -v16
	v_add_f32_e32 v26, v26, v57
	v_dual_fmac_f32 v16, 0xbf27a4f4, v14 :: v_dual_add_f32 v55, v55, v59
	v_mul_f32_e32 v17, 0xbf0a6770, v13
	v_fma_f32 v28, 0xbe11bafb, v14, -v23
	s_delay_alu instid0(VALU_DEP_3) | instskip(NEXT) | instid1(VALU_DEP_4)
	v_dual_fmac_f32 v23, 0xbe11bafb, v14 :: v_dual_add_f32 v16, v20, v16
	v_add_f32_e32 v21, v55, v21
	s_delay_alu instid0(VALU_DEP_4) | instskip(SKIP_1) | instid1(VALU_DEP_4)
	v_fma_f32 v20, 0x3f575c64, v14, -v17
	v_fmac_f32_e32 v17, 0x3f575c64, v14
	v_dual_add_f32 v23, v26, v23 :: v_dual_mul_f32 v26, 0xbe903f40, v13
	v_mul_f32_e32 v13, 0x3f68dda4, v13
	v_add_f32_e32 v25, v25, v58
	s_delay_alu instid0(VALU_DEP_4) | instskip(NEXT) | instid1(VALU_DEP_4)
	v_add_f32_e32 v17, v21, v17
	v_fma_f32 v9, 0xbf75a155, v14, -v26
	v_fmac_f32_e32 v26, 0xbf75a155, v14
	v_fma_f32 v21, 0x3ed4b147, v14, -v13
	v_fmac_f32_e32 v13, 0x3ed4b147, v14
	s_delay_alu instid0(VALU_DEP_3) | instskip(SKIP_2) | instid1(VALU_DEP_4)
	v_dual_add_f32 v9, v15, v9 :: v_dual_add_f32 v14, v18, v26
	v_fma_f32 v18, 0xbf75a155, v8, -v10
	v_fmac_f32_e32 v10, 0xbf75a155, v8
	v_dual_add_f32 v12, v12, v13 :: v_dual_mul_f32 v13, 0xbf4178ce, v7
	v_add_f32_e32 v15, v22, v21
	s_delay_alu instid0(VALU_DEP_3) | instskip(SKIP_1) | instid1(VALU_DEP_4)
	v_dual_mul_f32 v21, 0x3f0a6770, v7 :: v_dual_add_f32 v10, v16, v10
	v_add_f32_e32 v20, v25, v20
	v_fma_f32 v16, 0xbf27a4f4, v8, -v13
	v_fmac_f32_e32 v13, 0xbf27a4f4, v8
	v_dual_add_f32 v19, v19, v24 :: v_dual_mul_f32 v22, 0x3f68dda4, v7
	s_delay_alu instid0(VALU_DEP_3) | instskip(SKIP_1) | instid1(VALU_DEP_3)
	v_dual_mul_f32 v7, 0xbf7d64f0, v7 :: v_dual_add_f32 v16, v20, v16
	v_add_f32_e32 v24, v27, v28
	v_add_f32_e32 v18, v19, v18
	v_fma_f32 v19, 0x3f575c64, v8, -v21
	v_fmac_f32_e32 v21, 0x3f575c64, v8
	v_fma_f32 v20, 0x3ed4b147, v8, -v22
	s_delay_alu instid0(VALU_DEP_3) | instskip(NEXT) | instid1(VALU_DEP_3)
	v_dual_fmac_f32 v22, 0x3ed4b147, v8 :: v_dual_add_f32 v19, v24, v19
	v_add_f32_e32 v21, v23, v21
	v_fma_f32 v23, 0xbe11bafb, v8, -v7
	v_fmac_f32_e32 v7, 0xbe11bafb, v8
	v_add_f32_e32 v8, v9, v20
	v_mad_u32_u24 v9, v54, 44, 0
	s_delay_alu instid0(VALU_DEP_4) | instskip(NEXT) | instid1(VALU_DEP_4)
	v_dual_add_f32 v14, v14, v22 :: v_dual_add_f32 v15, v15, v23
	v_dual_add_f32 v7, v12, v7 :: v_dual_add_f32 v12, v17, v13
	ds_store_2addr_b32 v9, v11, v18 offset1:1
	ds_store_2addr_b32 v9, v19, v16 offset0:2 offset1:3
	ds_store_2addr_b32 v9, v8, v15 offset0:4 offset1:5
	;; [unrolled: 1-line block ×4, first 2 shown]
	ds_store_b32 v9, v10 offset:40
.LBB0_19:
	s_wait_alu 0xfffe
	s_or_b32 exec_lo, exec_lo, s1
	v_add_nc_u32_e32 v17, 0xc6, v3
	v_add_nc_u32_e32 v18, 0x129, v3
	global_wb scope:SCOPE_SE
	s_wait_dscnt 0x0
	s_barrier_signal -1
	s_barrier_wait -1
	v_and_b32_e32 v9, 0xffff, v17
	v_and_b32_e32 v10, 0xffff, v18
	global_inv scope:SCOPE_SE
	v_add_nc_u32_e32 v20, 0x1ef, v3
	v_mul_u32_u24_e32 v7, 0xba2f, v9
	v_mul_u32_u24_e32 v8, 0xba2f, v10
	s_delay_alu instid0(VALU_DEP_3) | instskip(NEXT) | instid1(VALU_DEP_3)
	v_and_b32_e32 v22, 0xffff, v20
	v_lshrrev_b32_e32 v27, 19, v7
	s_delay_alu instid0(VALU_DEP_3) | instskip(NEXT) | instid1(VALU_DEP_2)
	v_lshrrev_b32_e32 v28, 19, v8
	v_mul_lo_u16 v7, v27, 11
	s_delay_alu instid0(VALU_DEP_2) | instskip(SKIP_1) | instid1(VALU_DEP_3)
	v_mul_lo_u16 v8, v28, 11
	v_mul_u32_u24_e32 v28, 0x84, v28
	v_sub_nc_u16 v7, v17, v7
	s_delay_alu instid0(VALU_DEP_3) | instskip(NEXT) | instid1(VALU_DEP_2)
	v_sub_nc_u16 v8, v18, v8
	v_and_b32_e32 v81, 0xffff, v7
	s_delay_alu instid0(VALU_DEP_2) | instskip(NEXT) | instid1(VALU_DEP_2)
	v_and_b32_e32 v82, 0xffff, v8
	v_lshlrev_b32_e32 v7, 4, v81
	s_delay_alu instid0(VALU_DEP_2) | instskip(SKIP_4) | instid1(VALU_DEP_1)
	v_lshlrev_b32_e32 v8, 4, v82
	s_clause 0x1
	global_load_b128 v[11:14], v7, s[8:9]
	global_load_b128 v[23:26], v8, s[8:9]
	v_add_nc_u32_e32 v19, 0x18c, v3
	v_and_b32_e32 v21, 0xffff, v19
	s_delay_alu instid0(VALU_DEP_1) | instskip(NEXT) | instid1(VALU_DEP_1)
	v_mul_u32_u24_e32 v7, 0xba2f, v21
	v_lshrrev_b32_e32 v83, 19, v7
	v_mul_u32_u24_e32 v7, 0xba2f, v22
	s_delay_alu instid0(VALU_DEP_2) | instskip(NEXT) | instid1(VALU_DEP_2)
	v_mul_lo_u16 v8, v83, 11
	v_lshrrev_b32_e32 v84, 19, v7
	v_mul_u32_u24_e32 v83, 0x84, v83
	s_delay_alu instid0(VALU_DEP_3) | instskip(NEXT) | instid1(VALU_DEP_3)
	v_sub_nc_u16 v7, v19, v8
	v_mul_lo_u16 v8, v84, 11
	s_delay_alu instid0(VALU_DEP_2) | instskip(NEXT) | instid1(VALU_DEP_2)
	v_and_b32_e32 v85, 0xffff, v7
	v_sub_nc_u16 v7, v20, v8
	s_delay_alu instid0(VALU_DEP_2) | instskip(NEXT) | instid1(VALU_DEP_2)
	v_lshlrev_b32_e32 v8, 4, v85
	v_and_b32_e32 v87, 0xffff, v7
	global_load_b128 v[55:58], v8, s[8:9]
	v_lshlrev_b32_e32 v8, 4, v87
	global_load_b128 v[59:62], v8, s[8:9]
	v_and_b32_e32 v86, 0xff, v3
	v_and_b32_e32 v88, 0xff, v54
	s_delay_alu instid0(VALU_DEP_2) | instskip(NEXT) | instid1(VALU_DEP_2)
	v_mul_lo_u16 v7, 0x75, v86
	v_mul_lo_u16 v15, 0x75, v88
	s_delay_alu instid0(VALU_DEP_2) | instskip(NEXT) | instid1(VALU_DEP_2)
	v_lshrrev_b16 v7, 8, v7
	v_lshrrev_b16 v8, 8, v15
	s_delay_alu instid0(VALU_DEP_2) | instskip(NEXT) | instid1(VALU_DEP_2)
	v_sub_nc_u16 v15, v3, v7
	v_sub_nc_u16 v16, v54, v8
	s_delay_alu instid0(VALU_DEP_2) | instskip(NEXT) | instid1(VALU_DEP_2)
	v_lshrrev_b16 v15, 1, v15
	v_lshrrev_b16 v16, 1, v16
	s_delay_alu instid0(VALU_DEP_2) | instskip(NEXT) | instid1(VALU_DEP_2)
	v_and_b32_e32 v15, 0x7f, v15
	v_and_b32_e32 v16, 0x7f, v16
	s_delay_alu instid0(VALU_DEP_2) | instskip(NEXT) | instid1(VALU_DEP_2)
	v_add_nc_u16 v7, v15, v7
	v_add_nc_u16 v8, v16, v8
	s_delay_alu instid0(VALU_DEP_2) | instskip(NEXT) | instid1(VALU_DEP_2)
	v_lshrrev_b16 v89, 3, v7
	v_lshrrev_b16 v90, 3, v8
	s_delay_alu instid0(VALU_DEP_2) | instskip(NEXT) | instid1(VALU_DEP_2)
	v_mul_lo_u16 v7, v89, 11
	v_mul_lo_u16 v8, v90, 11
	s_delay_alu instid0(VALU_DEP_2) | instskip(NEXT) | instid1(VALU_DEP_2)
	v_sub_nc_u16 v7, v3, v7
	v_sub_nc_u16 v8, v54, v8
	s_delay_alu instid0(VALU_DEP_2) | instskip(NEXT) | instid1(VALU_DEP_2)
	v_and_b32_e32 v91, 0xff, v7
	v_and_b32_e32 v92, 0xff, v8
	s_delay_alu instid0(VALU_DEP_2) | instskip(NEXT) | instid1(VALU_DEP_2)
	v_lshlrev_b32_e32 v7, 4, v91
	v_lshlrev_b32_e32 v8, 4, v92
	s_clause 0x1
	global_load_b128 v[63:66], v7, s[8:9]
	global_load_b128 v[67:70], v8, s[8:9]
	ds_load_2addr_b32 v[7:8], v50 offset0:24 offset1:123
	ds_load_2addr_b32 v[15:16], v49 offset0:106 offset1:205
	ds_load_2addr_b32 v[71:72], v0 offset1:99
	ds_load_2addr_b32 v[73:74], v47 offset0:82 offset1:181
	ds_load_2addr_b32 v[75:76], v4 offset0:36 offset1:135
	ds_load_2addr_b32 v[77:78], v48 offset0:70 offset1:169
	ds_load_2addr_b32 v[79:80], v53 offset0:140 offset1:239
	s_wait_loadcnt_dscnt 0x505
	v_mul_f32_e32 v94, v15, v14
	s_wait_loadcnt 0x4
	v_dual_mul_f32 v14, v43, v14 :: v_dual_mul_f32 v95, v8, v24
	v_mul_f32_e32 v24, v46, v24
	v_mul_f32_e32 v93, v7, v12
	v_fmac_f32_e32 v94, v43, v13
	s_delay_alu instid0(VALU_DEP_4)
	v_fma_f32 v13, v15, v13, -v14
	v_fmac_f32_e32 v95, v46, v23
	v_fma_f32 v15, v8, v23, -v24
	v_mul_lo_u16 v23, 0xf9, v86
	v_mul_f32_e32 v12, v45, v12
	v_mul_lo_u16 v24, 0xf9, v88
	v_dual_fmac_f32 v93, v45, v11 :: v_dual_mul_f32 v14, v16, v26
	s_delay_alu instid0(VALU_DEP_4) | instskip(NEXT) | instid1(VALU_DEP_4)
	v_lshrrev_b16 v23, 13, v23
	v_fma_f32 v45, v7, v11, -v12
	ds_load_2addr_b32 v[7:8], v51 offset0:94 offset1:193
	v_lshrrev_b16 v24, 13, v24
	v_mul_f32_e32 v26, v44, v26
	v_mul_lo_u16 v43, v23, 33
	v_fmac_f32_e32 v14, v44, v25
	ds_load_2addr_b32 v[11:12], v52 offset0:48 offset1:147
	v_mul_lo_u16 v44, v24, 33
	v_fma_f32 v16, v16, v25, -v26
	v_sub_nc_u16 v43, v3, v43
	v_mul_u32_u24_e32 v86, 0x84, v27
	global_wb scope:SCOPE_SE
	s_wait_loadcnt_dscnt 0x0
	s_barrier_signal -1
	s_barrier_wait -1
	v_and_b32_e32 v27, 0xff, v43
	v_mul_u32_u24_e32 v43, 0x84, v84
	v_sub_nc_u16 v84, v54, v44
	v_lshlrev_b32_e32 v44, 2, v82
	v_lshlrev_b32_e32 v82, 2, v85
	;; [unrolled: 1-line block ×3, first 2 shown]
	v_and_b32_e32 v87, 0xffff, v89
	v_and_b32_e32 v89, 0xffff, v90
	v_add3_u32 v28, 0, v28, v44
	global_inv scope:SCOPE_SE
	v_add3_u32 v43, 0, v43, v85
	v_mul_u32_u24_e32 v44, 0x84, v87
	v_lshlrev_b32_e32 v85, 2, v91
	v_mul_u32_u24_e32 v26, 0xf83f, v10
	v_mul_u32_u24_e32 v25, 0xf83f, v9
	;; [unrolled: 1-line block ×4, first 2 shown]
	v_add3_u32 v85, 0, v44, v85
	v_mul_f32_e32 v44, v7, v56
	v_dual_mul_f32 v56, v41, v56 :: v_dual_lshlrev_b32 v81, 2, v81
	v_lshrrev_b32_e32 v26, 21, v26
	v_lshrrev_b32_e32 v25, 21, v25
	s_delay_alu instid0(VALU_DEP_4) | instskip(NEXT) | instid1(VALU_DEP_4)
	v_fmac_f32_e32 v44, v41, v55
	v_fma_f32 v7, v7, v55, -v56
	v_mul_f32_e32 v55, v12, v62
	v_mul_f32_e32 v56, v40, v62
	v_add3_u32 v81, 0, v86, v81
	v_lshlrev_b32_e32 v86, 4, v27
	s_delay_alu instid0(VALU_DEP_4) | instskip(NEXT) | instid1(VALU_DEP_4)
	v_dual_add_f32 v62, v78, v15 :: v_dual_fmac_f32 v55, v40, v61
	v_fma_f32 v12, v12, v61, -v56
	v_sub_f32_e32 v61, v15, v16
	v_add_f32_e32 v15, v15, v16
	v_add3_u32 v82, 0, v83, v82
	v_mul_u32_u24_e32 v83, 0x84, v89
	v_mul_f32_e32 v89, v11, v58
	v_dual_mul_f32 v58, v39, v58 :: v_dual_mul_f32 v41, v42, v60
	v_add_f32_e32 v40, v29, v93
	v_add_f32_e32 v56, v77, v45
	s_delay_alu instid0(VALU_DEP_4)
	v_fmac_f32_e32 v89, v39, v57
	v_mul_f32_e32 v39, v8, v60
	v_fma_f32 v11, v11, v57, -v58
	v_fma_f32 v8, v8, v59, -v41
	v_add_f32_e32 v41, v93, v94
	v_dual_add_f32 v60, v95, v14 :: v_dual_lshlrev_b32 v87, 2, v92
	v_fmac_f32_e32 v39, v42, v59
	v_dual_add_f32 v59, v30, v95 :: v_dual_sub_f32 v42, v45, v13
	s_delay_alu instid0(VALU_DEP_3)
	v_add3_u32 v57, 0, v83, v87
	v_add_f32_e32 v45, v45, v13
	v_sub_f32_e32 v58, v93, v94
	v_sub_f32_e32 v83, v95, v14
	;; [unrolled: 1-line block ×3, first 2 shown]
	v_add_f32_e32 v92, v79, v7
	v_dual_add_f32 v7, v7, v11 :: v_dual_add_f32 v40, v40, v94
	v_dual_add_f32 v93, v34, v39 :: v_dual_add_f32 v56, v56, v13
	v_dual_add_f32 v94, v39, v55 :: v_dual_sub_f32 v13, v8, v12
	v_dual_add_f32 v14, v59, v14 :: v_dual_add_f32 v59, v80, v8
	v_dual_add_f32 v8, v8, v12 :: v_dual_sub_f32 v39, v39, v55
	v_dual_add_f32 v87, v33, v44 :: v_dual_add_f32 v90, v44, v89
	v_fma_f32 v29, -0.5, v41, v29
	v_fma_f32 v41, -0.5, v45, v77
	v_fmac_f32_e32 v30, -0.5, v60
	v_fmac_f32_e32 v80, -0.5, v8
	v_sub_f32_e32 v44, v44, v89
	v_add_f32_e32 v60, v62, v16
	v_dual_fmac_f32 v78, -0.5, v15 :: v_dual_add_f32 v15, v87, v89
	v_fma_f32 v16, -0.5, v90, v33
	v_dual_add_f32 v33, v92, v11 :: v_dual_mul_f32 v8, v73, v64
	v_mul_f32_e32 v45, v75, v66
	v_fma_f32 v7, -0.5, v7, v79
	v_add_f32_e32 v11, v93, v55
	v_add_f32_e32 v55, v59, v12
	v_dual_mul_f32 v59, v35, v66 :: v_dual_mul_f32 v12, v37, v64
	v_mul_f32_e32 v62, v74, v68
	v_mul_f32_e32 v64, v38, v68
	v_dual_mul_f32 v66, v76, v70 :: v_dual_fmamk_f32 v77, v91, 0xbf5db3d7, v16
	v_mul_f32_e32 v68, v36, v70
	v_fmac_f32_e32 v8, v37, v63
	v_fmamk_f32 v70, v42, 0xbf5db3d7, v29
	v_fmac_f32_e32 v29, 0x3f5db3d7, v42
	v_fmamk_f32 v42, v58, 0x3f5db3d7, v41
	v_dual_fmac_f32 v41, 0xbf5db3d7, v58 :: v_dual_fmamk_f32 v58, v61, 0xbf5db3d7, v30
	v_dual_fmac_f32 v45, v35, v65 :: v_dual_fmac_f32 v34, -0.5, v94
	v_fmamk_f32 v79, v44, 0x3f5db3d7, v7
	v_dual_add_f32 v37, v31, v8 :: v_dual_fmac_f32 v62, v38, v67
	s_delay_alu instid0(VALU_DEP_3)
	v_dual_add_f32 v38, v8, v45 :: v_dual_fmac_f32 v7, 0xbf5db3d7, v44
	v_fma_f32 v12, v73, v63, -v12
	v_fmac_f32_e32 v30, 0x3f5db3d7, v61
	v_fmamk_f32 v61, v83, 0x3f5db3d7, v78
	v_fma_f32 v35, v74, v67, -v64
	v_fma_f32 v31, -0.5, v38, v31
	v_fmac_f32_e32 v66, v36, v69
	v_fma_f32 v36, v76, v69, -v68
	v_fmamk_f32 v44, v13, 0xbf5db3d7, v34
	v_dual_fmac_f32 v34, 0x3f5db3d7, v13 :: v_dual_add_f32 v67, v72, v35
	v_fma_f32 v13, v75, v65, -v59
	v_fmac_f32_e32 v78, 0xbf5db3d7, v83
	v_fmamk_f32 v83, v39, 0x3f5db3d7, v80
	v_dual_fmac_f32 v80, 0xbf5db3d7, v39 :: v_dual_add_f32 v59, v71, v12
	s_delay_alu instid0(VALU_DEP_4) | instskip(SKIP_4) | instid1(VALU_DEP_3)
	v_sub_f32_e32 v39, v12, v13
	v_sub_f32_e32 v65, v35, v36
	v_add_f32_e32 v35, v35, v36
	v_dual_add_f32 v37, v37, v45 :: v_dual_fmac_f32 v16, 0x3f5db3d7, v91
	v_dual_add_f32 v63, v32, v62 :: v_dual_add_f32 v38, v59, v13
	v_fmac_f32_e32 v72, -0.5, v35
	v_dual_add_f32 v12, v12, v13 :: v_dual_fmamk_f32 v13, v39, 0xbf5db3d7, v31
	v_dual_sub_f32 v8, v8, v45 :: v_dual_and_b32 v75, 0xff, v84
	v_dual_fmac_f32 v31, 0x3f5db3d7, v39 :: v_dual_add_f32 v64, v62, v66
	v_sub_f32_e32 v62, v62, v66
	v_dual_add_f32 v36, v67, v36 :: v_dual_lshlrev_b32 v27, 2, v27
	v_mul_lo_u16 v88, v25, 33
	v_lshrrev_b32_e32 v46, 21, v46
	s_delay_alu instid0(VALU_DEP_4) | instskip(SKIP_4) | instid1(VALU_DEP_4)
	v_fmamk_f32 v39, v62, 0x3f5db3d7, v72
	v_fma_f32 v59, -0.5, v12, v71
	v_add_f32_e32 v12, v63, v66
	v_lshrrev_b32_e32 v84, 22, v21
	v_mul_u32_u24_e32 v25, 0x18c, v25
	v_dual_fmamk_f32 v35, v8, 0x3f5db3d7, v59 :: v_dual_fmac_f32 v32, -0.5, v64
	s_delay_alu instid0(VALU_DEP_1)
	v_dual_fmac_f32 v59, 0xbf5db3d7, v8 :: v_dual_fmamk_f32 v8, v65, 0xbf5db3d7, v32
	v_fmac_f32_e32 v32, 0x3f5db3d7, v65
	ds_store_2addr_b32 v85, v37, v13 offset1:11
	ds_store_b32 v85, v31 offset:88
	ds_store_2addr_b32 v57, v12, v8 offset1:11
	ds_store_b32 v57, v32 offset:88
	;; [unrolled: 2-line block ×6, first 2 shown]
	global_wb scope:SCOPE_SE
	s_wait_dscnt 0x0
	s_barrier_signal -1
	s_barrier_wait -1
	global_inv scope:SCOPE_SE
	ds_load_2addr_b32 v[15:16], v0 offset1:99
	ds_load_2addr_b32 v[44:45], v47 offset0:82 offset1:181
	ds_load_2addr_b32 v[63:64], v4 offset0:36 offset1:135
	;; [unrolled: 1-line block ×8, first 2 shown]
	v_fmac_f32_e32 v72, 0xbf5db3d7, v62
	global_wb scope:SCOPE_SE
	s_wait_dscnt 0x0
	s_barrier_signal -1
	s_barrier_wait -1
	global_inv scope:SCOPE_SE
	ds_store_2addr_b32 v85, v38, v35 offset1:11
	ds_store_b32 v85, v59 offset:88
	ds_store_2addr_b32 v57, v36, v39 offset1:11
	ds_store_b32 v57, v72 offset:88
	;; [unrolled: 2-line block ×6, first 2 shown]
	global_wb scope:SCOPE_SE
	s_wait_dscnt 0x0
	s_barrier_signal -1
	s_barrier_wait -1
	global_inv scope:SCOPE_SE
	global_load_b128 v[28:31], v86, s[8:9] offset:176
	v_mul_lo_u16 v7, v26, 33
	v_mul_u32_u24_e32 v36, 0xf83f, v22
	v_sub_nc_u16 v8, v17, v88
	v_mul_lo_u16 v37, v46, 33
	v_mul_u32_u24_e32 v81, 0xa57f, v10
	v_sub_nc_u16 v7, v18, v7
	v_lshrrev_b32_e32 v77, 21, v36
	v_and_b32_e32 v76, 0xffff, v8
	v_sub_nc_u16 v8, v19, v37
	v_mul_u32_u24_e32 v83, 0xa57f, v22
	v_and_b32_e32 v78, 0xffff, v7
	v_mul_lo_u16 v7, v77, 33
	v_and_b32_e32 v22, 0xffff, v23
	v_and_b32_e32 v79, 0xffff, v8
	;; [unrolled: 1-line block ×3, first 2 shown]
	v_lshlrev_b32_e32 v8, 4, v78
	v_sub_nc_u16 v7, v20, v7
	v_lshrrev_b32_e32 v24, 22, v81
	v_lshlrev_b32_e32 v55, 4, v79
	v_mul_u32_u24_e32 v46, 0x18c, v46
	global_load_b128 v[40:43], v8, s[8:9] offset:176
	v_and_b32_e32 v80, 0xffff, v7
	v_mul_lo_u16 v85, 0x63, v24
	global_load_b128 v[55:58], v55, s[8:9] offset:176
	v_lshlrev_b32_e32 v36, 4, v76
	v_mul_u32_u24_e32 v26, 0x18c, v26
	v_lshlrev_b32_e32 v7, 4, v80
	v_mul_u32_u24_e32 v77, 0x18c, v77
	global_load_b128 v[59:62], v7, s[8:9] offset:176
	v_dual_mov_b32 v8, 0 :: v_dual_lshlrev_b32 v7, 1, v3
	s_delay_alu instid0(VALU_DEP_1) | instskip(SKIP_1) | instid1(VALU_DEP_2)
	v_lshlrev_b64_e32 v[71:72], 3, v[7:8]
	v_mul_u32_u24_e32 v7, 0xa57f, v9
	v_add_co_u32 v9, s0, s8, v71
	s_wait_alu 0xf1ff
	s_delay_alu instid0(VALU_DEP_3) | instskip(NEXT) | instid1(VALU_DEP_3)
	v_add_co_ci_u32_e64 v10, s0, s9, v72, s0
	v_lshrrev_b32_e32 v7, 22, v7
	v_mul_u32_u24_e32 v71, 0x18c, v22
	v_mul_u32_u24_e32 v72, 0x18c, v23
	ds_load_2addr_b32 v[21:22], v47 offset0:82 offset1:181
	ds_load_2addr_b32 v[23:24], v4 offset0:36 offset1:135
	v_mul_lo_u16 v7, 0x63, v7
	s_delay_alu instid0(VALU_DEP_1) | instskip(NEXT) | instid1(VALU_DEP_1)
	v_sub_nc_u16 v7, v17, v7
	v_and_b32_e32 v86, 0xffff, v7
	v_add3_u32 v7, 0, v71, v27
	v_lshlrev_b32_e32 v27, 2, v76
	v_lshlrev_b32_e32 v76, 2, v79
	s_delay_alu instid0(VALU_DEP_2) | instskip(NEXT) | instid1(VALU_DEP_2)
	v_add3_u32 v88, 0, v25, v27
	v_add3_u32 v90, 0, v46, v76
	s_wait_loadcnt_dscnt 0x301
	v_mul_f32_e32 v46, v21, v29
	v_mul_f32_e32 v27, v44, v29
	s_wait_dscnt 0x0
	v_mul_f32_e32 v29, v23, v31
	v_lshlrev_b32_e32 v32, 4, v75
	v_mul_f32_e32 v31, v63, v31
	global_load_b128 v[36:39], v36, s[8:9] offset:176
	v_lshlrev_b32_e32 v75, 2, v75
	v_fmac_f32_e32 v29, v63, v30
	global_load_b128 v[32:35], v32, s[8:9] offset:176
	v_fma_f32 v23, v23, v30, -v31
	v_fma_f32 v21, v21, v28, -v27
	v_add3_u32 v87, 0, v72, v75
	s_wait_loadcnt 0x0
	v_mul_f32_e32 v31, v45, v33
	v_lshlrev_b32_e32 v71, 2, v78
	v_lshlrev_b32_e32 v78, 2, v80
	v_dual_mul_f32 v30, v22, v33 :: v_dual_mul_f32 v33, v24, v35
	v_mul_f32_e32 v35, v64, v35
	s_delay_alu instid0(VALU_DEP_4) | instskip(NEXT) | instid1(VALU_DEP_4)
	v_add3_u32 v89, 0, v26, v71
	v_add3_u32 v91, 0, v77, v78
	ds_load_2addr_b32 v[25:26], v0 offset1:99
	ds_load_2addr_b32 v[71:72], v48 offset0:70 offset1:169
	ds_load_2addr_b32 v[75:76], v50 offset0:24 offset1:123
	;; [unrolled: 1-line block ×5, first 2 shown]
	v_fmac_f32_e32 v30, v45, v32
	v_fma_f32 v22, v22, v32, -v31
	v_dual_mul_f32 v32, v65, v37 :: v_dual_fmac_f32 v33, v64, v34
	v_fma_f32 v24, v24, v34, -v35
	v_mul_f32_e32 v35, v66, v41
	v_mul_f32_e32 v45, v69, v56
	s_wait_dscnt 0x3
	v_mul_f32_e32 v31, v75, v37
	s_wait_dscnt 0x2
	v_mul_f32_e32 v37, v77, v39
	v_dual_mul_f32 v39, v67, v39 :: v_dual_fmac_f32 v46, v44, v28
	ds_load_2addr_b32 v[27:28], v52 offset0:48 offset1:147
	v_dual_mul_f32 v34, v76, v41 :: v_dual_fmac_f32 v31, v65, v36
	v_mul_f32_e32 v41, v78, v43
	s_wait_dscnt 0x1
	v_dual_mul_f32 v43, v68, v43 :: v_dual_mul_f32 v44, v81, v56
	v_fmac_f32_e32 v37, v67, v38
	v_fma_f32 v32, v75, v36, -v32
	v_fmac_f32_e32 v41, v68, v42
	v_fma_f32 v36, v77, v38, -v39
	v_dual_mul_f32 v39, v73, v58 :: v_dual_mul_f32 v56, v82, v60
	v_fmac_f32_e32 v34, v66, v40
	v_fma_f32 v35, v76, v40, -v35
	v_fma_f32 v40, v78, v42, -v43
	v_fmac_f32_e32 v44, v69, v55
	v_fma_f32 v42, v81, v55, -v45
	v_add_f32_e32 v45, v46, v29
	v_dual_fmac_f32 v56, v70, v59 :: v_dual_sub_f32 v65, v32, v36
	s_wait_dscnt 0x0
	v_mul_f32_e32 v38, v27, v58
	v_dual_mul_f32 v58, v70, v60 :: v_dual_add_f32 v43, v15, v46
	v_mul_f32_e32 v60, v28, v62
	v_mul_f32_e32 v62, v74, v62
	s_delay_alu instid0(VALU_DEP_4)
	v_fmac_f32_e32 v38, v73, v57
	v_fma_f32 v27, v27, v57, -v39
	v_add_f32_e32 v57, v25, v21
	v_dual_fmac_f32 v60, v74, v61 :: v_dual_add_f32 v63, v13, v31
	v_fma_f32 v39, v82, v59, -v58
	v_sub_f32_e32 v55, v21, v23
	v_add_f32_e32 v21, v21, v23
	v_fma_f32 v28, v28, v61, -v62
	v_dual_sub_f32 v46, v46, v29 :: v_dual_sub_f32 v69, v35, v40
	v_dual_add_f32 v58, v16, v30 :: v_dual_add_f32 v59, v30, v33
	v_sub_f32_e32 v61, v22, v24
	v_add_f32_e32 v62, v26, v22
	v_dual_add_f32 v64, v31, v37 :: v_dual_add_f32 v67, v14, v34
	v_dual_sub_f32 v31, v31, v37 :: v_dual_add_f32 v70, v72, v35
	v_sub_f32_e32 v81, v39, v28
	v_dual_add_f32 v35, v35, v40 :: v_dual_add_f32 v74, v44, v38
	v_dual_add_f32 v22, v22, v24 :: v_dual_add_f32 v29, v43, v29
	v_dual_sub_f32 v30, v30, v33 :: v_dual_add_f32 v73, v11, v44
	v_dual_add_f32 v66, v71, v32 :: v_dual_sub_f32 v75, v42, v27
	v_dual_add_f32 v32, v32, v36 :: v_dual_add_f32 v23, v57, v23
	v_fma_f32 v15, -0.5, v45, v15
	v_add_f32_e32 v78, v56, v60
	v_dual_add_f32 v68, v34, v41 :: v_dual_add_f32 v77, v12, v56
	v_sub_f32_e32 v34, v34, v41
	v_add_f32_e32 v76, v79, v42
	v_add_f32_e32 v42, v42, v27
	v_sub_f32_e32 v44, v44, v38
	v_fma_f32 v21, -0.5, v21, v25
	v_dual_add_f32 v82, v80, v39 :: v_dual_add_f32 v39, v39, v28
	v_dual_add_f32 v25, v58, v33 :: v_dual_fmac_f32 v72, -0.5, v35
	v_fma_f32 v11, -0.5, v74, v11
	v_fmac_f32_e32 v26, -0.5, v22
	v_fma_f32 v13, -0.5, v64, v13
	v_fmac_f32_e32 v16, -0.5, v59
	v_fma_f32 v32, -0.5, v32, v71
	v_dual_add_f32 v35, v73, v38 :: v_dual_fmamk_f32 v38, v55, 0xbf5db3d7, v15
	v_dual_fmac_f32 v15, 0x3f5db3d7, v55 :: v_dual_fmac_f32 v12, -0.5, v78
	v_sub_f32_e32 v56, v56, v60
	v_dual_add_f32 v33, v66, v36 :: v_dual_fmac_f32 v80, -0.5, v39
	v_fmamk_f32 v64, v46, 0x3f5db3d7, v21
	v_fmamk_f32 v66, v34, 0x3f5db3d7, v72
	v_fmac_f32_e32 v72, 0xbf5db3d7, v34
	v_fmamk_f32 v34, v75, 0xbf5db3d7, v11
	v_dual_fmac_f32 v11, 0x3f5db3d7, v75 :: v_dual_add_f32 v22, v63, v37
	v_fma_f32 v63, -0.5, v42, v79
	v_add_f32_e32 v37, v77, v60
	v_dual_fmac_f32 v14, -0.5, v68 :: v_dual_fmac_f32 v21, 0xbf5db3d7, v46
	v_dual_add_f32 v24, v62, v24 :: v_dual_add_f32 v27, v76, v27
	v_fmamk_f32 v39, v61, 0xbf5db3d7, v16
	v_fmac_f32_e32 v16, 0x3f5db3d7, v61
	v_fmamk_f32 v61, v30, 0x3f5db3d7, v26
	v_fmac_f32_e32 v26, 0xbf5db3d7, v30
	v_add_f32_e32 v62, v70, v40
	v_fmamk_f32 v30, v65, 0xbf5db3d7, v13
	v_fmac_f32_e32 v13, 0x3f5db3d7, v65
	v_fmamk_f32 v65, v31, 0x3f5db3d7, v32
	v_fmamk_f32 v40, v81, 0xbf5db3d7, v12
	global_wb scope:SCOPE_SE
	s_barrier_signal -1
	s_barrier_wait -1
	global_inv scope:SCOPE_SE
	v_add_f32_e32 v36, v67, v41
	v_add_f32_e32 v28, v82, v28
	v_fmac_f32_e32 v32, 0xbf5db3d7, v31
	v_fmamk_f32 v67, v44, 0x3f5db3d7, v63
	v_fmamk_f32 v31, v69, 0xbf5db3d7, v14
	v_fmac_f32_e32 v14, 0x3f5db3d7, v69
	v_fmac_f32_e32 v63, 0xbf5db3d7, v44
	;; [unrolled: 1-line block ×3, first 2 shown]
	v_fmamk_f32 v68, v56, 0x3f5db3d7, v80
	v_fmac_f32_e32 v80, 0xbf5db3d7, v56
	ds_store_2addr_b32 v7, v29, v38 offset1:33
	ds_store_b32 v7, v15 offset:264
	ds_store_2addr_b32 v87, v25, v39 offset1:33
	ds_store_b32 v87, v16 offset:264
	ds_store_2addr_b32 v88, v22, v30 offset1:33
	ds_store_b32 v88, v13 offset:264
	ds_store_2addr_b32 v89, v36, v31 offset1:33
	ds_store_b32 v89, v14 offset:264
	ds_store_2addr_b32 v90, v35, v34 offset1:33
	ds_store_b32 v90, v11 offset:264
	ds_store_2addr_b32 v91, v37, v40 offset1:33
	ds_store_b32 v91, v12 offset:264
	global_wb scope:SCOPE_SE
	s_wait_dscnt 0x0
	s_barrier_signal -1
	s_barrier_wait -1
	global_inv scope:SCOPE_SE
	ds_load_2addr_b32 v[15:16], v0 offset1:99
	ds_load_2addr_b32 v[37:38], v47 offset0:82 offset1:181
	ds_load_2addr_b32 v[39:40], v4 offset0:36 offset1:135
	;; [unrolled: 1-line block ×8, first 2 shown]
	global_wb scope:SCOPE_SE
	s_wait_dscnt 0x0
	s_barrier_signal -1
	s_barrier_wait -1
	global_inv scope:SCOPE_SE
	ds_store_2addr_b32 v7, v23, v64 offset1:33
	ds_store_b32 v7, v21 offset:264
	ds_store_2addr_b32 v87, v24, v61 offset1:33
	ds_store_b32 v87, v26 offset:264
	;; [unrolled: 2-line block ×6, first 2 shown]
	v_sub_nc_u16 v7, v18, v85
	v_lshrrev_b32_e32 v18, 22, v83
	global_wb scope:SCOPE_SE
	s_wait_dscnt 0x0
	s_barrier_signal -1
	s_barrier_wait -1
	global_inv scope:SCOPE_SE
	global_load_b128 v[11:14], v[9:10], off offset:704
	v_mul_lo_u16 v25, 0x63, v84
	v_and_b32_e32 v63, 0xffff, v7
	v_mul_lo_u16 v7, 0x63, v18
	v_lshlrev_b32_e32 v21, 4, v86
	s_delay_alu instid0(VALU_DEP_4) | instskip(NEXT) | instid1(VALU_DEP_4)
	v_sub_nc_u16 v18, v19, v25
	v_lshlrev_b32_e32 v19, 4, v63
	s_delay_alu instid0(VALU_DEP_4)
	v_sub_nc_u16 v7, v20, v7
	s_clause 0x1
	global_load_b128 v[21:24], v21, s[8:9] offset:704
	global_load_b128 v[25:28], v19, s[8:9] offset:704
	v_and_b32_e32 v20, 0xffff, v18
	v_and_b32_e32 v67, 0xffff, v7
	s_delay_alu instid0(VALU_DEP_2) | instskip(NEXT) | instid1(VALU_DEP_2)
	v_lshlrev_b32_e32 v7, 4, v20
	v_lshlrev_b32_e32 v18, 4, v67
	s_clause 0x1
	global_load_b128 v[29:32], v7, s[8:9] offset:704
	global_load_b128 v[33:36], v18, s[8:9] offset:704
	v_lshlrev_b32_e32 v7, 1, v54
	v_lshl_add_u32 v54, v63, 2, 0
	ds_load_2addr_b32 v[63:64], v47 offset0:82 offset1:181
	ds_load_2addr_b32 v[65:66], v4 offset0:36 offset1:135
	v_lshl_add_u32 v79, v20, 2, 0
	v_lshlrev_b64_e32 v[18:19], 3, v[7:8]
	v_lshlrev_b32_e32 v7, 1, v17
	v_add_nc_u32_e32 v82, 0xc00, v54
	s_delay_alu instid0(VALU_DEP_4) | instskip(NEXT) | instid1(VALU_DEP_4)
	v_add_nc_u32_e32 v83, 0x1200, v79
	v_add_co_u32 v17, s0, s8, v18
	s_delay_alu instid0(VALU_DEP_4)
	v_lshlrev_b64_e32 v[61:62], 3, v[7:8]
	v_lshl_add_u32 v7, v86, 2, 0
	s_wait_alu 0xf1ff
	v_add_co_ci_u32_e64 v18, s0, s9, v19, s0
	ds_load_2addr_b32 v[19:20], v50 offset0:24 offset1:123
	s_wait_loadcnt 0x4
	v_dual_mul_f32 v88, v39, v14 :: v_dual_add_nc_u32 v81, 0x800, v7
	v_mul_f32_e32 v86, v37, v12
	v_lshl_add_u32 v80, v67, 2, 0
	ds_load_2addr_b32 v[67:68], v0 offset1:99
	ds_load_2addr_b32 v[69:70], v48 offset0:70 offset1:169
	ds_load_2addr_b32 v[71:72], v49 offset0:106 offset1:205
	;; [unrolled: 1-line block ×5, first 2 shown]
	s_wait_dscnt 0x8
	v_mul_f32_e32 v85, v63, v12
	s_wait_dscnt 0x7
	v_mul_f32_e32 v87, v65, v14
	v_mul_f32_e32 v89, v64, v12
	;; [unrolled: 1-line block ×3, first 2 shown]
	global_wb scope:SCOPE_SE
	s_wait_loadcnt_dscnt 0x0
	v_mul_f32_e32 v91, v19, v22
	v_fmac_f32_e32 v85, v37, v11
	v_fmac_f32_e32 v89, v38, v11
	v_fma_f32 v38, v63, v11, -v86
	v_fma_f32 v11, v64, v11, -v12
	v_dual_mul_f32 v12, v45, v24 :: v_dual_fmac_f32 v87, v39, v13
	v_mul_f32_e32 v22, v43, v22
	v_fmac_f32_e32 v91, v43, v21
	s_barrier_signal -1
	s_barrier_wait -1
	v_dual_mul_f32 v37, v71, v24 :: v_dual_mul_f32 v24, v20, v26
	v_mul_f32_e32 v39, v72, v28
	v_dual_mul_f32 v63, v77, v32 :: v_dual_mul_f32 v90, v66, v14
	s_delay_alu instid0(VALU_DEP_3) | instskip(NEXT) | instid1(VALU_DEP_2)
	v_dual_mul_f32 v14, v40, v14 :: v_dual_fmac_f32 v37, v45, v23
	v_dual_fmac_f32 v24, v44, v25 :: v_dual_fmac_f32 v63, v59, v31
	s_delay_alu instid0(VALU_DEP_3) | instskip(SKIP_1) | instid1(VALU_DEP_4)
	v_fmac_f32_e32 v90, v40, v13
	v_fma_f32 v40, v65, v13, -v88
	v_fma_f32 v13, v66, v13, -v14
	v_mul_f32_e32 v26, v44, v26
	v_mul_f32_e32 v14, v46, v28
	;; [unrolled: 1-line block ×3, first 2 shown]
	v_dual_mul_f32 v30, v57, v30 :: v_dual_add_f32 v45, v91, v37
	v_mul_f32_e32 v32, v59, v32
	v_fma_f32 v20, v20, v25, -v26
	s_delay_alu instid0(VALU_DEP_4) | instskip(NEXT) | instid1(VALU_DEP_4)
	v_dual_add_f32 v59, v42, v24 :: v_dual_fmac_f32 v28, v57, v29
	v_fma_f32 v25, v75, v29, -v30
	v_add_f32_e32 v29, v85, v87
	v_fma_f32 v19, v19, v21, -v22
	v_mul_f32_e32 v22, v78, v36
	v_dual_fmac_f32 v39, v46, v27 :: v_dual_add_nc_u32 v84, 0x1600, v80
	v_mul_f32_e32 v21, v58, v34
	s_delay_alu instid0(VALU_DEP_4)
	v_add_f32_e32 v57, v69, v19
	v_sub_f32_e32 v43, v89, v90
	v_fma_f32 v26, v77, v31, -v32
	v_add_f32_e32 v31, v67, v38
	v_fma_f32 v12, v71, v23, -v12
	v_mul_f32_e32 v23, v60, v36
	v_mul_f32_e32 v64, v76, v34
	v_fmac_f32_e32 v22, v60, v35
	v_fma_f32 v21, v76, v33, -v21
	v_sub_f32_e32 v46, v19, v12
	v_fma_f32 v23, v78, v35, -v23
	v_add_f32_e32 v35, v89, v90
	v_fma_f32 v14, v72, v27, -v14
	v_add_f32_e32 v27, v15, v85
	v_dual_add_f32 v34, v16, v89 :: v_dual_add_f32 v19, v19, v12
	v_dual_fmac_f32 v64, v58, v33 :: v_dual_sub_f32 v75, v25, v26
	v_sub_f32_e32 v30, v38, v40
	v_dual_add_f32 v32, v38, v40 :: v_dual_sub_f32 v33, v85, v87
	v_add_f32_e32 v38, v68, v11
	v_add_f32_e32 v27, v27, v87
	;; [unrolled: 1-line block ×3, first 2 shown]
	v_sub_f32_e32 v36, v11, v13
	v_dual_add_f32 v11, v11, v13 :: v_dual_add_f32 v44, v41, v91
	v_add_f32_e32 v13, v38, v13
	v_fma_f32 v15, -0.5, v29, v15
	v_add_f32_e32 v29, v34, v90
	v_fma_f32 v31, -0.5, v45, v41
	v_fma_f32 v19, -0.5, v19, v69
	v_fmac_f32_e32 v16, -0.5, v35
	v_add_f32_e32 v76, v73, v25
	v_dual_add_f32 v25, v25, v26 :: v_dual_fmac_f32 v68, -0.5, v11
	v_add_f32_e32 v11, v44, v37
	v_dual_add_f32 v86, v74, v21 :: v_dual_sub_f32 v65, v20, v14
	v_add_f32_e32 v77, v56, v64
	v_dual_add_f32 v71, v55, v28 :: v_dual_add_f32 v78, v64, v22
	v_sub_f32_e32 v85, v21, v23
	v_add_f32_e32 v60, v24, v39
	v_dual_add_f32 v66, v70, v20 :: v_dual_add_f32 v21, v21, v23
	v_fma_f32 v67, -0.5, v32, v67
	v_add_f32_e32 v72, v28, v63
	v_fma_f32 v44, -0.5, v25, v73
	v_fmamk_f32 v25, v46, 0xbf5db3d7, v31
	v_fmac_f32_e32 v31, 0x3f5db3d7, v46
	v_dual_add_f32 v20, v20, v14 :: v_dual_add_f32 v45, v86, v23
	v_dual_fmamk_f32 v23, v36, 0xbf5db3d7, v16 :: v_dual_sub_f32 v58, v91, v37
	v_add_f32_e32 v41, v76, v26
	v_sub_f32_e32 v24, v24, v39
	s_delay_alu instid0(VALU_DEP_4)
	v_fmac_f32_e32 v70, -0.5, v20
	v_fma_f32 v34, -0.5, v72, v55
	v_dual_fmac_f32 v74, -0.5, v21 :: v_dual_fmamk_f32 v21, v30, 0xbf5db3d7, v15
	v_fmac_f32_e32 v42, -0.5, v60
	v_sub_f32_e32 v28, v28, v63
	v_fmac_f32_e32 v56, -0.5, v78
	v_sub_f32_e32 v64, v64, v22
	v_fmac_f32_e32 v15, 0x3f5db3d7, v30
	v_fmamk_f32 v55, v33, 0x3f5db3d7, v67
	v_dual_add_f32 v12, v57, v12 :: v_dual_fmac_f32 v67, 0xbf5db3d7, v33
	v_fmamk_f32 v57, v43, 0x3f5db3d7, v68
	v_fmac_f32_e32 v68, 0xbf5db3d7, v43
	v_fmamk_f32 v43, v58, 0x3f5db3d7, v19
	v_fmac_f32_e32 v19, 0xbf5db3d7, v58
	v_fmac_f32_e32 v16, 0x3f5db3d7, v36
	v_add_f32_e32 v32, v59, v39
	v_add_f32_e32 v22, v77, v22
	v_fmamk_f32 v26, v65, 0xbf5db3d7, v42
	v_fmamk_f32 v46, v24, 0x3f5db3d7, v70
	v_fmac_f32_e32 v70, 0xbf5db3d7, v24
	v_fmamk_f32 v24, v75, 0xbf5db3d7, v34
	v_fmac_f32_e32 v34, 0x3f5db3d7, v75
	global_inv scope:SCOPE_SE
	v_add_f32_e32 v20, v71, v63
	v_fmac_f32_e32 v42, 0x3f5db3d7, v65
	v_fmamk_f32 v58, v28, 0x3f5db3d7, v44
	v_fmac_f32_e32 v44, 0xbf5db3d7, v28
	v_fmamk_f32 v28, v85, 0xbf5db3d7, v56
	v_fmac_f32_e32 v56, 0x3f5db3d7, v85
	ds_store_2addr_b32 v0, v27, v21 offset1:99
	ds_store_2addr_b32 v48, v15, v29 offset0:70 offset1:169
	ds_store_2addr_b32 v53, v23, v16 offset0:140 offset1:239
	;; [unrolled: 1-line block ×6, first 2 shown]
	ds_store_b32 v7, v31 offset:3168
	ds_store_b32 v54, v42 offset:4356
	;; [unrolled: 1-line block ×4, first 2 shown]
	global_wb scope:SCOPE_SE
	s_wait_dscnt 0x0
	s_barrier_signal -1
	s_barrier_wait -1
	global_inv scope:SCOPE_SE
	ds_load_2addr_b32 v[21:22], v0 offset1:99
	ds_load_2addr_b32 v[23:24], v47 offset0:82 offset1:181
	ds_load_2addr_b32 v[25:26], v4 offset0:36 offset1:135
	;; [unrolled: 1-line block ×8, first 2 shown]
	v_dual_add_f32 v14, v66, v14 :: v_dual_fmamk_f32 v59, v64, 0x3f5db3d7, v74
	v_fmac_f32_e32 v74, 0xbf5db3d7, v64
	global_wb scope:SCOPE_SE
	s_wait_dscnt 0x0
	s_barrier_signal -1
	s_barrier_wait -1
	global_inv scope:SCOPE_SE
	ds_store_2addr_b32 v0, v87, v55 offset1:99
	ds_store_2addr_b32 v48, v67, v13 offset0:70 offset1:169
	ds_store_2addr_b32 v53, v57, v68 offset0:140 offset1:239
	;; [unrolled: 1-line block ×6, first 2 shown]
	ds_store_b32 v7, v19 offset:3168
	ds_store_b32 v54, v70 offset:4356
	;; [unrolled: 1-line block ×4, first 2 shown]
	v_add_co_u32 v19, s0, s8, v61
	s_wait_alu 0xf1ff
	v_add_co_ci_u32_e64 v20, s0, s9, v62, s0
	global_wb scope:SCOPE_SE
	s_wait_dscnt 0x0
	s_barrier_signal -1
	s_barrier_wait -1
	global_inv scope:SCOPE_SE
	s_clause 0x2
	global_load_b128 v[9:12], v[9:10], off offset:2288
	global_load_b128 v[13:16], v[17:18], off offset:2288
	;; [unrolled: 1-line block ×3, first 2 shown]
	ds_load_2addr_b32 v[41:42], v47 offset0:82 offset1:181
	ds_load_2addr_b32 v[43:44], v4 offset0:36 offset1:135
	ds_load_2addr_b32 v[45:46], v50 offset0:24 offset1:123
	ds_load_2addr_b32 v[54:55], v49 offset0:106 offset1:205
	ds_load_2addr_b32 v[56:57], v0 offset1:99
	ds_load_2addr_b32 v[58:59], v48 offset0:70 offset1:169
	ds_load_2addr_b32 v[60:61], v53 offset0:140 offset1:239
	ds_load_2addr_b32 v[62:63], v51 offset0:94 offset1:193
	ds_load_2addr_b32 v[64:65], v52 offset0:48 offset1:147
	v_lshl_add_u32 v28, v3, 2, 0
	v_add_nc_u32_e32 v7, 0x1000, v0
	v_add_nc_u32_e32 v27, 0x1600, v0
	global_wb scope:SCOPE_SE
	s_wait_loadcnt_dscnt 0x0
	s_barrier_signal -1
	s_barrier_wait -1
	global_inv scope:SCOPE_SE
	v_mul_f32_e32 v67, v23, v10
	v_mul_f32_e32 v82, v63, v18
	v_dual_mul_f32 v74, v45, v18 :: v_dual_mul_f32 v81, v64, v16
	v_mul_f32_e32 v83, v65, v20
	v_mul_f32_e32 v68, v43, v12
	s_delay_alu instid0(VALU_DEP_4)
	v_fmac_f32_e32 v82, v38, v17
	v_mul_f32_e32 v76, v54, v20
	v_dual_mul_f32 v69, v25, v12 :: v_dual_mul_f32 v78, v46, v10
	v_mul_f32_e32 v79, v55, v12
	v_mul_f32_e32 v12, v34, v12
	v_fmac_f32_e32 v74, v31, v17
	v_fmac_f32_e32 v81, v39, v15
	;; [unrolled: 1-line block ×3, first 2 shown]
	v_dual_mul_f32 v66, v41, v10 :: v_dual_fmac_f32 v83, v40, v19
	v_dual_mul_f32 v10, v32, v10 :: v_dual_mul_f32 v73, v26, v16
	v_mul_f32_e32 v77, v33, v20
	v_fmac_f32_e32 v68, v25, v11
	v_fma_f32 v25, v43, v11, -v69
	v_fmac_f32_e32 v79, v34, v11
	v_dual_sub_f32 v43, v74, v76 :: v_dual_fmac_f32 v66, v23, v9
	v_fma_f32 v23, v41, v9, -v67
	v_add_f32_e32 v67, v36, v82
	v_fmac_f32_e32 v78, v32, v9
	v_mul_f32_e32 v72, v44, v16
	v_dual_mul_f32 v16, v39, v16 :: v_dual_add_f32 v69, v82, v83
	v_fma_f32 v9, v46, v9, -v10
	v_fma_f32 v10, v55, v11, -v12
	;; [unrolled: 1-line block ×3, first 2 shown]
	s_delay_alu instid0(VALU_DEP_4) | instskip(NEXT) | instid1(VALU_DEP_4)
	v_fma_f32 v12, v64, v15, -v16
	v_dual_sub_f32 v55, v78, v79 :: v_dual_add_f32 v54, v59, v9
	s_delay_alu instid0(VALU_DEP_4)
	v_sub_f32_e32 v46, v9, v10
	v_dual_add_f32 v9, v9, v10 :: v_dual_fmac_f32 v72, v26, v15
	v_fma_f32 v26, v44, v15, -v73
	v_add_f32_e32 v15, v21, v66
	v_mul_f32_e32 v80, v62, v14
	v_mul_f32_e32 v71, v24, v14
	;; [unrolled: 1-line block ×3, first 2 shown]
	v_sub_f32_e32 v73, v82, v83
	s_delay_alu instid0(VALU_DEP_4)
	v_dual_add_f32 v15, v15, v68 :: v_dual_fmac_f32 v80, v37, v13
	v_mul_f32_e32 v70, v42, v14
	v_mul_f32_e32 v14, v37, v14
	v_fma_f32 v31, v45, v17, -v75
	v_add_f32_e32 v39, v29, v74
	v_fmac_f32_e32 v59, -0.5, v9
	v_fmac_f32_e32 v70, v24, v13
	v_fma_f32 v11, v62, v13, -v14
	v_add_f32_e32 v62, v35, v80
	v_fma_f32 v24, v42, v13, -v71
	v_add_f32_e32 v16, v66, v68
	v_add_f32_e32 v42, v58, v31
	s_delay_alu instid0(VALU_DEP_4) | instskip(SKIP_4) | instid1(VALU_DEP_4)
	v_dual_mul_f32 v20, v40, v20 :: v_dual_add_f32 v9, v62, v81
	v_mul_f32_e32 v18, v38, v18
	v_add_f32_e32 v40, v74, v76
	v_fma_f32 v16, -0.5, v16, v21
	v_dual_sub_f32 v34, v24, v26 :: v_dual_add_f32 v37, v57, v24
	v_fma_f32 v13, v63, v17, -v18
	s_delay_alu instid0(VALU_DEP_4)
	v_fma_f32 v21, -0.5, v40, v29
	v_add_f32_e32 v29, v42, v33
	v_fma_f32 v14, v65, v19, -v20
	v_add_f32_e32 v19, v23, v25
	v_dual_add_f32 v71, v61, v13 :: v_dual_add_f32 v18, v56, v23
	v_add_f32_e32 v65, v60, v11
	v_sub_f32_e32 v41, v31, v33
	s_delay_alu instid0(VALU_DEP_4)
	v_fma_f32 v56, -0.5, v19, v56
	v_add_f32_e32 v19, v39, v76
	v_add_f32_e32 v39, v71, v14
	;; [unrolled: 1-line block ×4, first 2 shown]
	v_sub_f32_e32 v64, v11, v12
	v_add_f32_e32 v11, v11, v12
	v_add_f32_e32 v33, v54, v10
	v_fma_f32 v10, -0.5, v63, v35
	v_add_f32_e32 v35, v65, v12
	v_dual_add_f32 v32, v70, v72 :: v_dual_sub_f32 v17, v23, v25
	v_sub_f32_e32 v20, v66, v68
	v_dual_add_f32 v23, v22, v70 :: v_dual_sub_f32 v66, v80, v81
	v_sub_f32_e32 v38, v70, v72
	v_sub_f32_e32 v70, v13, v14
	v_add_f32_e32 v13, v13, v14
	v_fmamk_f32 v14, v41, 0xbf5db3d7, v21
	v_fmac_f32_e32 v21, 0x3f5db3d7, v41
	v_dual_fmamk_f32 v41, v55, 0x3f5db3d7, v59 :: v_dual_fmac_f32 v22, -0.5, v32
	v_add_f32_e32 v32, v37, v26
	v_fma_f32 v37, -0.5, v11, v60
	v_dual_add_f32 v11, v67, v83 :: v_dual_add_nc_u32 v28, 0xa00, v28
	v_add_f32_e32 v45, v78, v79
	v_add_f32_e32 v44, v30, v78
	v_dual_add_f32 v24, v24, v26 :: v_dual_fmac_f32 v59, 0xbf5db3d7, v55
	v_fmac_f32_e32 v36, -0.5, v69
	s_delay_alu instid0(VALU_DEP_4) | instskip(SKIP_1) | instid1(VALU_DEP_4)
	v_fmac_f32_e32 v30, -0.5, v45
	v_dual_fmac_f32 v61, -0.5, v13 :: v_dual_fmamk_f32 v12, v17, 0xbf5db3d7, v16
	v_dual_fmac_f32 v16, 0x3f5db3d7, v17 :: v_dual_fmac_f32 v57, -0.5, v24
	s_delay_alu instid0(VALU_DEP_3)
	v_fmamk_f32 v17, v46, 0xbf5db3d7, v30
	v_fmamk_f32 v13, v34, 0xbf5db3d7, v22
	v_add_f32_e32 v68, v18, v25
	v_add_f32_e32 v18, v23, v72
	v_dual_fmac_f32 v22, 0x3f5db3d7, v34 :: v_dual_add_f32 v23, v44, v79
	v_fmamk_f32 v40, v20, 0x3f5db3d7, v56
	v_fmac_f32_e32 v56, 0xbf5db3d7, v20
	v_fmamk_f32 v20, v64, 0xbf5db3d7, v10
	v_fmac_f32_e32 v10, 0x3f5db3d7, v64
	;; [unrolled: 2-line block ×3, first 2 shown]
	v_fmac_f32_e32 v36, 0x3f5db3d7, v70
	ds_store_2addr_b32 v0, v15, v18 offset1:99
	ds_store_2addr_b32 v51, v9, v11 offset0:94 offset1:193
	ds_store_2addr_b32 v47, v16, v22 offset0:82 offset1:181
	;; [unrolled: 1-line block ×8, first 2 shown]
	global_wb scope:SCOPE_SE
	s_wait_dscnt 0x0
	s_barrier_signal -1
	s_barrier_wait -1
	global_inv scope:SCOPE_SE
	ds_load_2addr_b32 v[9:10], v0 offset1:99
	ds_load_2addr_b32 v[17:18], v50 offset0:123 offset1:222
	ds_load_2addr_b32 v[11:12], v48 offset0:70 offset1:169
	;; [unrolled: 1-line block ×7, first 2 shown]
	ds_load_b32 v25, v0 offset:2376
	ds_load_b32 v26, v0 offset:6732
	v_fma_f32 v31, -0.5, v31, v58
	v_fmamk_f32 v42, v66, 0x3f5db3d7, v37
	v_fmac_f32_e32 v37, 0xbf5db3d7, v66
	v_fmamk_f32 v34, v38, 0x3f5db3d7, v57
	v_fmac_f32_e32 v57, 0xbf5db3d7, v38
	;; [unrolled: 2-line block ×4, first 2 shown]
	global_wb scope:SCOPE_SE
	s_wait_dscnt 0x0
	s_barrier_signal -1
	s_barrier_wait -1
	global_inv scope:SCOPE_SE
	ds_store_2addr_b32 v0, v68, v32 offset1:99
	ds_store_2addr_b32 v47, v56, v57 offset0:82 offset1:181
	ds_store_2addr_b32 v48, v29, v40 offset0:70 offset1:169
	;; [unrolled: 1-line block ×8, first 2 shown]
	global_wb scope:SCOPE_SE
	s_wait_dscnt 0x0
	s_barrier_signal -1
	s_barrier_wait -1
	global_inv scope:SCOPE_SE
	s_and_saveexec_b32 s0, vcc_lo
	s_cbranch_execz .LBB0_21
; %bb.20:
	v_dual_mov_b32 v4, v8 :: v_dual_add_nc_u32 v53, 0x400, v0
	v_mul_lo_u32 v61, s3, v5
	v_mul_lo_u32 v6, s2, v6
	v_mul_hi_u32 v62, 0x931b4b91, v3
	s_delay_alu instid0(VALU_DEP_4) | instskip(SKIP_1) | instid1(VALU_DEP_2)
	v_lshlrev_b64_e32 v[29:30], 3, v[3:4]
	v_mad_co_u64_u32 v[4:5], null, s2, v5, 0
	v_add_co_u32 v29, vcc_lo, s8, v29
	s_wait_alu 0xfffd
	s_delay_alu instid0(VALU_DEP_3) | instskip(NEXT) | instid1(VALU_DEP_3)
	v_add_co_ci_u32_e32 v30, vcc_lo, s9, v30, vcc_lo
	v_add3_u32 v5, v5, v6, v61
	v_lshrrev_b32_e32 v62, 9, v62
	s_clause 0x8
	global_load_b64 v[31:32], v[29:30], off offset:12584
	global_load_b64 v[33:34], v[29:30], off offset:13376
	;; [unrolled: 1-line block ×9, first 2 shown]
	ds_load_2addr_b32 v[47:48], v28 offset0:53 offset1:152
	ds_load_2addr_b32 v[27:28], v27 offset0:77 offset1:176
	ds_load_b32 v87, v0 offset:6732
	ds_load_b32 v88, v0 offset:2376
	v_add_nc_u32_e32 v55, 0x1400, v0
	v_add_nc_u32_e32 v57, 0x200, v0
	ds_load_2addr_b32 v[49:50], v7 offset0:65 offset1:164
	ds_load_2addr_b32 v[51:52], v0 offset1:99
	v_add_nc_u32_e32 v7, 0xc00, v0
	v_lshlrev_b64_e32 v[0:1], 3, v[1:2]
	v_add_nc_u32_e32 v2, 0x63, v3
	ds_load_2addr_b32 v[53:54], v53 offset0:140 offset1:239
	ds_load_2addr_b32 v[55:56], v55 offset0:7 offset1:106
	;; [unrolled: 1-line block ×4, first 2 shown]
	v_add_nc_u32_e32 v68, 0x2b5, v3
	v_add_nc_u32_e32 v63, 0xc6, v3
	;; [unrolled: 1-line block ×3, first 2 shown]
	v_mul_hi_u32 v7, 0x931b4b91, v2
	v_mul_u32_u24_e32 v62, 0x37b, v62
	v_mul_hi_u32 v61, 0x931b4b91, v68
	v_mul_hi_u32 v70, 0x931b4b91, v63
	v_add_nc_u32_e32 v69, 0x318, v3
	v_mul_hi_u32 v71, 0x931b4b91, v64
	v_lshlrev_b64_e32 v[4:5], 3, v[4:5]
	v_add_nc_u32_e32 v65, 0x18c, v3
	v_lshrrev_b32_e32 v7, 9, v7
	v_add_nc_u32_e32 v66, 0x1ef, v3
	v_lshrrev_b32_e32 v79, 9, v61
	v_lshrrev_b32_e32 v70, 9, v70
	v_add_nc_u32_e32 v67, 0x252, v3
	v_mul_u32_u24_e32 v61, 0x37b, v7
	v_sub_nc_u32_e32 v3, v3, v62
	v_mul_hi_u32 v74, 0x931b4b91, v69
	v_mul_u32_u24_e32 v62, 0x37b, v70
	v_add_co_u32 v4, vcc_lo, s6, v4
	v_sub_nc_u32_e32 v2, v2, v61
	v_lshrrev_b32_e32 v71, 9, v71
	s_wait_alu 0xfffd
	v_add_co_ci_u32_e32 v5, vcc_lo, s7, v5, vcc_lo
	v_lshlrev_b32_e32 v85, 3, v3
	v_mad_u32_u24 v7, 0x6f6, v7, v2
	v_sub_nc_u32_e32 v61, v63, v62
	v_mul_hi_u32 v72, 0x931b4b91, v65
	v_add_co_u32 v86, vcc_lo, v4, v0
	s_delay_alu instid0(VALU_DEP_4)
	v_lshlrev_b64_e32 v[2:3], 3, v[7:8]
	v_add_nc_u32_e32 v7, 0x37b, v7
	v_lshrrev_b32_e32 v83, 9, v74
	v_mul_u32_u24_e32 v74, 0x37b, v71
	s_wait_alu 0xfffd
	v_add_co_ci_u32_e32 v89, vcc_lo, v5, v1, vcc_lo
	v_lshlrev_b64_e32 v[0:1], 3, v[7:8]
	v_mad_u32_u24 v7, 0x6f6, v70, v61
	v_mul_hi_u32 v73, 0x931b4b91, v66
	v_lshrrev_b32_e32 v72, 9, v72
	v_sub_nc_u32_e32 v63, v64, v74
	v_mul_u32_u24_e32 v78, 0x37b, v79
	v_lshlrev_b64_e32 v[4:5], 3, v[7:8]
	v_add_nc_u32_e32 v7, 0x37b, v7
	v_mul_u32_u24_e32 v75, 0x37b, v72
	v_mul_u32_u24_e32 v80, 0x37b, v83
	v_lshrrev_b32_e32 v73, 9, v73
	v_sub_nc_u32_e32 v81, v68, v78
	v_lshlrev_b64_e32 v[61:62], 3, v[7:8]
	v_mad_u32_u24 v7, 0x6f6, v71, v63
	v_sub_nc_u32_e32 v74, v65, v75
	v_mul_u32_u24_e32 v76, 0x37b, v73
	v_sub_nc_u32_e32 v84, v69, v80
	v_add_co_u32 v2, vcc_lo, v86, v2
	v_lshlrev_b64_e32 v[63:64], 3, v[7:8]
	v_add_nc_u32_e32 v7, 0x37b, v7
	v_sub_nc_u32_e32 v75, v66, v76
	s_wait_alu 0xfffd
	v_add_co_ci_u32_e32 v3, vcc_lo, v89, v3, vcc_lo
	v_add_co_u32 v0, vcc_lo, v86, v0
	v_lshlrev_b64_e32 v[65:66], 3, v[7:8]
	v_mad_u32_u24 v7, 0x6f6, v72, v74
	s_wait_alu 0xfffd
	v_add_co_ci_u32_e32 v1, vcc_lo, v89, v1, vcc_lo
	v_add_co_u32 v4, vcc_lo, v86, v4
	s_wait_alu 0xfffd
	v_add_co_ci_u32_e32 v5, vcc_lo, v89, v5, vcc_lo
	v_add_co_u32 v61, vcc_lo, v86, v61
	;; [unrolled: 3-line block ×4, first 2 shown]
	s_wait_alu 0xfffd
	v_add_co_ci_u32_e32 v66, vcc_lo, v89, v66, vcc_lo
	s_wait_loadcnt 0x6
	v_mul_f32_e32 v90, v23, v36
	v_mul_hi_u32 v6, 0x931b4b91, v67
	s_delay_alu instid0(VALU_DEP_1) | instskip(NEXT) | instid1(VALU_DEP_1)
	v_lshrrev_b32_e32 v6, 9, v6
	v_mul_u32_u24_e32 v77, 0x37b, v6
	s_delay_alu instid0(VALU_DEP_1) | instskip(SKIP_2) | instid1(VALU_DEP_1)
	v_sub_nc_u32_e32 v76, v67, v77
	v_lshlrev_b64_e32 v[67:68], 3, v[7:8]
	v_add_nc_u32_e32 v7, 0x37b, v7
	v_lshlrev_b64_e32 v[69:70], 3, v[7:8]
	v_mad_u32_u24 v7, 0x6f6, v73, v75
	s_delay_alu instid0(VALU_DEP_4) | instskip(SKIP_2) | instid1(VALU_DEP_3)
	v_add_co_u32 v67, vcc_lo, v86, v67
	s_wait_alu 0xfffd
	v_add_co_ci_u32_e32 v68, vcc_lo, v89, v68, vcc_lo
	v_lshlrev_b64_e32 v[71:72], 3, v[7:8]
	v_add_nc_u32_e32 v7, 0x37b, v7
	v_add_co_u32 v69, vcc_lo, v86, v69
	s_wait_alu 0xfffd
	v_add_co_ci_u32_e32 v70, vcc_lo, v89, v70, vcc_lo
	s_delay_alu instid0(VALU_DEP_3) | instskip(SKIP_4) | instid1(VALU_DEP_3)
	v_lshlrev_b64_e32 v[73:74], 3, v[7:8]
	v_mad_u32_u24 v7, 0x6f6, v6, v76
	v_add_co_u32 v71, vcc_lo, v86, v71
	s_wait_alu 0xfffd
	v_add_co_ci_u32_e32 v72, vcc_lo, v89, v72, vcc_lo
	v_lshlrev_b64_e32 v[75:76], 3, v[7:8]
	v_add_nc_u32_e32 v7, 0x37b, v7
	v_add_co_u32 v73, vcc_lo, v86, v73
	s_wait_alu 0xfffd
	v_add_co_ci_u32_e32 v74, vcc_lo, v89, v74, vcc_lo
	s_delay_alu instid0(VALU_DEP_3) | instskip(SKIP_4) | instid1(VALU_DEP_3)
	v_lshlrev_b64_e32 v[77:78], 3, v[7:8]
	v_mad_u32_u24 v7, 0x6f6, v79, v81
	;; [unrolled: 11-line block ×3, first 2 shown]
	v_add_co_u32 v79, vcc_lo, v86, v79
	s_wait_alu 0xfffd
	v_add_co_ci_u32_e32 v80, vcc_lo, v89, v80, vcc_lo
	v_lshlrev_b64_e32 v[83:84], 3, v[7:8]
	v_add_nc_u32_e32 v7, 0x37b, v7
	v_add_co_u32 v81, vcc_lo, v86, v81
	s_wait_alu 0xfffd
	v_add_co_ci_u32_e32 v82, vcc_lo, v89, v82, vcc_lo
	s_delay_alu instid0(VALU_DEP_3)
	v_lshlrev_b64_e32 v[6:7], 3, v[7:8]
	v_add_co_u32 v83, vcc_lo, v86, v83
	v_mul_f32_e32 v8, v24, v32
	s_wait_dscnt 0x8
	v_mul_f32_e32 v32, v28, v32
	s_wait_alu 0xfffd
	v_add_co_ci_u32_e32 v84, vcc_lo, v89, v84, vcc_lo
	v_add_co_u32 v6, vcc_lo, v86, v6
	s_wait_alu 0xfffd
	v_add_co_ci_u32_e32 v7, vcc_lo, v89, v7, vcc_lo
	v_fmac_f32_e32 v32, v24, v31
	v_mul_f32_e32 v24, v27, v36
	s_wait_loadcnt 0x3
	v_mul_f32_e32 v36, v20, v42
	v_add_co_u32 v85, vcc_lo, v86, v85
	s_wait_alu 0xfffd
	v_add_co_ci_u32_e32 v86, vcc_lo, 0, v89, vcc_lo
	v_mul_f32_e32 v89, v26, v34
	v_fma_f32 v8, v31, v28, -v8
	s_wait_dscnt 0x7
	v_mul_f32_e32 v28, v87, v34
	v_mul_f32_e32 v31, v22, v38
	s_wait_dscnt 0x2
	v_mul_f32_e32 v34, v56, v38
	v_fma_f32 v27, v35, v27, -v90
	v_dual_fmac_f32 v24, v23, v35 :: v_dual_mul_f32 v23, v21, v40
	v_dual_mul_f32 v35, v55, v40 :: v_dual_mul_f32 v38, v50, v42
	v_fma_f32 v40, v33, v87, -v89
	s_wait_loadcnt 0x2
	v_mul_f32_e32 v42, v19, v44
	v_dual_fmac_f32 v28, v26, v33 :: v_dual_mul_f32 v33, v49, v44
	s_wait_loadcnt_dscnt 0x100
	v_mul_f32_e32 v44, v60, v46
	v_fma_f32 v31, v37, v56, -v31
	v_fmac_f32_e32 v34, v22, v37
	s_wait_loadcnt 0x0
	v_mul_f32_e32 v22, v17, v30
	v_dual_mul_f32 v37, v59, v30 :: v_dual_fmac_f32 v44, v18, v45
	v_mul_f32_e32 v26, v18, v46
	v_fma_f32 v30, v39, v55, -v23
	v_dual_fmac_f32 v35, v21, v39 :: v_dual_sub_f32 v18, v48, v40
	v_fma_f32 v36, v41, v50, -v36
	v_fma_f32 v39, v43, v49, -v42
	;; [unrolled: 1-line block ×3, first 2 shown]
	v_fmac_f32_e32 v37, v17, v29
	v_fmac_f32_e32 v38, v20, v41
	v_sub_f32_e32 v20, v47, v8
	v_fmac_f32_e32 v33, v19, v43
	v_fma_f32 v41, v45, v60, -v26
	v_dual_sub_f32 v23, v14, v34 :: v_dual_sub_f32 v26, v13, v35
	v_dual_sub_f32 v29, v58, v36 :: v_dual_sub_f32 v34, v9, v37
	v_sub_f32_e32 v35, v51, v42
	v_sub_f32_e32 v17, v16, v28
	v_dual_sub_f32 v19, v15, v32 :: v_dual_sub_f32 v22, v88, v27
	v_dual_sub_f32 v27, v53, v30 :: v_dual_sub_f32 v32, v10, v44
	;; [unrolled: 1-line block ×3, first 2 shown]
	v_sub_f32_e32 v30, v11, v33
	v_dual_sub_f32 v33, v52, v41 :: v_dual_sub_f32 v24, v54, v31
	v_sub_f32_e32 v31, v57, v39
	v_fma_f32 v45, v51, 2.0, -v35
	v_fma_f32 v44, v9, 2.0, -v34
	s_delay_alu instid0(VALU_DEP_4)
	v_fma_f32 v9, v52, 2.0, -v33
	v_fma_f32 v8, v10, 2.0, -v32
	v_fma_f32 v42, v12, 2.0, -v28
	v_fma_f32 v12, v57, 2.0, -v31
	v_fma_f32 v11, v11, 2.0, -v30
	v_fma_f32 v37, v48, 2.0, -v18
	v_fma_f32 v36, v16, 2.0, -v17
	v_fma_f32 v16, v47, 2.0, -v20
	v_fma_f32 v15, v15, 2.0, -v19
	v_fma_f32 v39, v88, 2.0, -v22
	v_fma_f32 v38, v25, 2.0, -v21
	v_fma_f32 v41, v54, 2.0, -v24
	v_fma_f32 v40, v14, 2.0, -v23
	v_fma_f32 v14, v53, 2.0, -v27
	v_fma_f32 v13, v13, 2.0, -v26
	v_fma_f32 v43, v58, 2.0, -v29
	s_clause 0x11
	global_store_b64 v[85:86], v[44:45], off
	global_store_b64 v[85:86], v[34:35], off offset:7128
	global_store_b64 v[2:3], v[8:9], off
	global_store_b64 v[0:1], v[32:33], off
	;; [unrolled: 1-line block ×16, first 2 shown]
.LBB0_21:
	s_nop 0
	s_sendmsg sendmsg(MSG_DEALLOC_VGPRS)
	s_endpgm
	.section	.rodata,"a",@progbits
	.p2align	6, 0x0
	.amdhsa_kernel fft_rtc_back_len1782_factors_11_3_3_3_3_2_wgs_99_tpt_99_halfLds_sp_op_CI_CI_unitstride_sbrr_dirReg
		.amdhsa_group_segment_fixed_size 0
		.amdhsa_private_segment_fixed_size 0
		.amdhsa_kernarg_size 104
		.amdhsa_user_sgpr_count 2
		.amdhsa_user_sgpr_dispatch_ptr 0
		.amdhsa_user_sgpr_queue_ptr 0
		.amdhsa_user_sgpr_kernarg_segment_ptr 1
		.amdhsa_user_sgpr_dispatch_id 0
		.amdhsa_user_sgpr_private_segment_size 0
		.amdhsa_wavefront_size32 1
		.amdhsa_uses_dynamic_stack 0
		.amdhsa_enable_private_segment 0
		.amdhsa_system_sgpr_workgroup_id_x 1
		.amdhsa_system_sgpr_workgroup_id_y 0
		.amdhsa_system_sgpr_workgroup_id_z 0
		.amdhsa_system_sgpr_workgroup_info 0
		.amdhsa_system_vgpr_workitem_id 0
		.amdhsa_next_free_vgpr 96
		.amdhsa_next_free_sgpr 39
		.amdhsa_reserve_vcc 1
		.amdhsa_float_round_mode_32 0
		.amdhsa_float_round_mode_16_64 0
		.amdhsa_float_denorm_mode_32 3
		.amdhsa_float_denorm_mode_16_64 3
		.amdhsa_fp16_overflow 0
		.amdhsa_workgroup_processor_mode 1
		.amdhsa_memory_ordered 1
		.amdhsa_forward_progress 0
		.amdhsa_round_robin_scheduling 0
		.amdhsa_exception_fp_ieee_invalid_op 0
		.amdhsa_exception_fp_denorm_src 0
		.amdhsa_exception_fp_ieee_div_zero 0
		.amdhsa_exception_fp_ieee_overflow 0
		.amdhsa_exception_fp_ieee_underflow 0
		.amdhsa_exception_fp_ieee_inexact 0
		.amdhsa_exception_int_div_zero 0
	.end_amdhsa_kernel
	.text
.Lfunc_end0:
	.size	fft_rtc_back_len1782_factors_11_3_3_3_3_2_wgs_99_tpt_99_halfLds_sp_op_CI_CI_unitstride_sbrr_dirReg, .Lfunc_end0-fft_rtc_back_len1782_factors_11_3_3_3_3_2_wgs_99_tpt_99_halfLds_sp_op_CI_CI_unitstride_sbrr_dirReg
                                        ; -- End function
	.section	.AMDGPU.csdata,"",@progbits
; Kernel info:
; codeLenInByte = 14888
; NumSgprs: 41
; NumVgprs: 96
; ScratchSize: 0
; MemoryBound: 0
; FloatMode: 240
; IeeeMode: 1
; LDSByteSize: 0 bytes/workgroup (compile time only)
; SGPRBlocks: 5
; VGPRBlocks: 11
; NumSGPRsForWavesPerEU: 41
; NumVGPRsForWavesPerEU: 96
; Occupancy: 16
; WaveLimiterHint : 1
; COMPUTE_PGM_RSRC2:SCRATCH_EN: 0
; COMPUTE_PGM_RSRC2:USER_SGPR: 2
; COMPUTE_PGM_RSRC2:TRAP_HANDLER: 0
; COMPUTE_PGM_RSRC2:TGID_X_EN: 1
; COMPUTE_PGM_RSRC2:TGID_Y_EN: 0
; COMPUTE_PGM_RSRC2:TGID_Z_EN: 0
; COMPUTE_PGM_RSRC2:TIDIG_COMP_CNT: 0
	.text
	.p2alignl 7, 3214868480
	.fill 96, 4, 3214868480
	.type	__hip_cuid_283b0b71baadb20f,@object ; @__hip_cuid_283b0b71baadb20f
	.section	.bss,"aw",@nobits
	.globl	__hip_cuid_283b0b71baadb20f
__hip_cuid_283b0b71baadb20f:
	.byte	0                               ; 0x0
	.size	__hip_cuid_283b0b71baadb20f, 1

	.ident	"AMD clang version 19.0.0git (https://github.com/RadeonOpenCompute/llvm-project roc-6.4.0 25133 c7fe45cf4b819c5991fe208aaa96edf142730f1d)"
	.section	".note.GNU-stack","",@progbits
	.addrsig
	.addrsig_sym __hip_cuid_283b0b71baadb20f
	.amdgpu_metadata
---
amdhsa.kernels:
  - .args:
      - .actual_access:  read_only
        .address_space:  global
        .offset:         0
        .size:           8
        .value_kind:     global_buffer
      - .offset:         8
        .size:           8
        .value_kind:     by_value
      - .actual_access:  read_only
        .address_space:  global
        .offset:         16
        .size:           8
        .value_kind:     global_buffer
      - .actual_access:  read_only
        .address_space:  global
        .offset:         24
        .size:           8
        .value_kind:     global_buffer
      - .actual_access:  read_only
        .address_space:  global
        .offset:         32
        .size:           8
        .value_kind:     global_buffer
      - .offset:         40
        .size:           8
        .value_kind:     by_value
      - .actual_access:  read_only
        .address_space:  global
        .offset:         48
        .size:           8
        .value_kind:     global_buffer
      - .actual_access:  read_only
        .address_space:  global
        .offset:         56
        .size:           8
        .value_kind:     global_buffer
      - .offset:         64
        .size:           4
        .value_kind:     by_value
      - .actual_access:  read_only
        .address_space:  global
        .offset:         72
        .size:           8
        .value_kind:     global_buffer
      - .actual_access:  read_only
        .address_space:  global
        .offset:         80
        .size:           8
        .value_kind:     global_buffer
      - .actual_access:  read_only
        .address_space:  global
        .offset:         88
        .size:           8
        .value_kind:     global_buffer
      - .actual_access:  write_only
        .address_space:  global
        .offset:         96
        .size:           8
        .value_kind:     global_buffer
    .group_segment_fixed_size: 0
    .kernarg_segment_align: 8
    .kernarg_segment_size: 104
    .language:       OpenCL C
    .language_version:
      - 2
      - 0
    .max_flat_workgroup_size: 99
    .name:           fft_rtc_back_len1782_factors_11_3_3_3_3_2_wgs_99_tpt_99_halfLds_sp_op_CI_CI_unitstride_sbrr_dirReg
    .private_segment_fixed_size: 0
    .sgpr_count:     41
    .sgpr_spill_count: 0
    .symbol:         fft_rtc_back_len1782_factors_11_3_3_3_3_2_wgs_99_tpt_99_halfLds_sp_op_CI_CI_unitstride_sbrr_dirReg.kd
    .uniform_work_group_size: 1
    .uses_dynamic_stack: false
    .vgpr_count:     96
    .vgpr_spill_count: 0
    .wavefront_size: 32
    .workgroup_processor_mode: 1
amdhsa.target:   amdgcn-amd-amdhsa--gfx1201
amdhsa.version:
  - 1
  - 2
...

	.end_amdgpu_metadata
